;; amdgpu-corpus repo=ROCm/rocFFT kind=compiled arch=gfx950 opt=O3
	.text
	.amdgcn_target "amdgcn-amd-amdhsa--gfx950"
	.amdhsa_code_object_version 6
	.protected	bluestein_single_back_len1155_dim1_sp_op_CI_CI ; -- Begin function bluestein_single_back_len1155_dim1_sp_op_CI_CI
	.globl	bluestein_single_back_len1155_dim1_sp_op_CI_CI
	.p2align	8
	.type	bluestein_single_back_len1155_dim1_sp_op_CI_CI,@function
bluestein_single_back_len1155_dim1_sp_op_CI_CI: ; @bluestein_single_back_len1155_dim1_sp_op_CI_CI
; %bb.0:
	s_load_dwordx4 s[8:11], s[0:1], 0x28
	v_mul_u32_u24_e32 v1, 0x4a8, v0
	v_mov_b32_e32 v131, 0
	v_add_u32_sdwa v6, s2, v1 dst_sel:DWORD dst_unused:UNUSED_PAD src0_sel:DWORD src1_sel:WORD_1
	v_mov_b32_e32 v7, v131
	s_waitcnt lgkmcnt(0)
	v_cmp_gt_u64_e32 vcc, s[8:9], v[6:7]
	s_and_saveexec_b64 s[2:3], vcc
	s_cbranch_execz .LBB0_23
; %bb.1:
	s_load_dwordx4 s[4:7], s[0:1], 0x18
	s_load_dwordx2 s[16:17], s[0:1], 0x0
	v_mov_b32_e32 v4, 55
	v_mul_lo_u16_sdwa v1, v1, v4 dst_sel:DWORD dst_unused:UNUSED_PAD src0_sel:WORD_1 src1_sel:DWORD
	v_sub_u16_e32 v130, v0, v1
	s_waitcnt lgkmcnt(0)
	s_load_dwordx4 s[12:15], s[4:5], 0x0
	v_accvgpr_write_b32 a18, v6
	v_mov_b32_e32 v2, s10
	v_mov_b32_e32 v3, s11
	v_lshlrev_b32_e32 v142, 3, v130
	s_waitcnt lgkmcnt(0)
	v_mad_u64_u32 v[0:1], s[2:3], s14, v6, 0
	v_mov_b32_e32 v4, v1
	v_mad_u64_u32 v[4:5], s[2:3], s15, v6, v[4:5]
	v_mov_b32_e32 v1, v4
	v_mad_u64_u32 v[4:5], s[2:3], s12, v130, 0
	v_mov_b32_e32 v6, v5
	v_mad_u64_u32 v[6:7], s[2:3], s13, v130, v[6:7]
	s_mul_i32 s2, s13, 0x69
	s_mul_hi_u32 s3, s12, 0x69
	v_mov_b32_e32 v5, v6
	v_lshl_add_u64 v[0:1], v[0:1], 3, v[2:3]
	s_add_i32 s3, s3, s2
	s_mul_i32 s2, s12, 0x69
	v_lshl_add_u64 v[0:1], v[4:5], 3, v[0:1]
	s_lshl_b64 s[2:3], s[2:3], 3
	global_load_dwordx2 v[6:7], v[0:1], off
	v_lshl_add_u64 v[0:1], v[0:1], 0, s[2:3]
	global_load_dwordx2 v[50:51], v142, s[16:17]
	global_load_dwordx2 v[8:9], v[0:1], off
	global_load_dwordx2 v[48:49], v142, s[16:17] offset:840
	v_lshl_add_u64 v[0:1], v[0:1], 0, s[2:3]
	v_mov_b32_e32 v143, v131
	global_load_dwordx2 v[44:45], v142, s[16:17] offset:1680
	global_load_dwordx2 v[10:11], v[0:1], off
	v_lshl_add_u64 v[0:1], v[0:1], 0, s[2:3]
	v_lshl_add_u64 v[26:27], s[16:17], 0, v[142:143]
	global_load_dwordx2 v[12:13], v[0:1], off
	v_lshl_add_u64 v[0:1], v[0:1], 0, s[2:3]
	s_movk_i32 s4, 0x1000
	global_load_dwordx2 v[14:15], v[0:1], off
	global_load_dwordx2 v[46:47], v142, s[16:17] offset:2520
	global_load_dwordx2 v[40:41], v142, s[16:17] offset:3360
	v_lshl_add_u64 v[2:3], v[0:1], 0, s[2:3]
	v_add_co_u32_e32 v0, vcc, s4, v26
	global_load_dwordx2 v[16:17], v[2:3], off
	s_nop 0
	v_addc_co_u32_e32 v1, vcc, 0, v27, vcc
	global_load_dwordx2 v[42:43], v[0:1], off offset:104
	v_lshl_add_u64 v[2:3], v[2:3], 0, s[2:3]
	global_load_dwordx2 v[18:19], v[2:3], off
	global_load_dwordx2 v[38:39], v[0:1], off offset:944
	v_lshl_add_u64 v[2:3], v[2:3], 0, s[2:3]
	global_load_dwordx2 v[20:21], v[2:3], off
	;; [unrolled: 3-line block ×3, first 2 shown]
	global_load_dwordx2 v[34:35], v[0:1], off offset:2624
	v_lshl_add_u64 v[2:3], v[2:3], 0, s[2:3]
	s_movk_i32 s4, 0x2000
	global_load_dwordx2 v[24:25], v[2:3], off
	global_load_dwordx2 v[32:33], v[0:1], off offset:3464
	v_add_co_u32_e32 v4, vcc, s4, v26
	v_accvgpr_write_b32 a0, v26
	s_nop 0
	v_addc_co_u32_e32 v5, vcc, 0, v27, vcc
	v_lshl_add_u64 v[2:3], v[2:3], 0, s[2:3]
	v_accvgpr_write_b32 a1, v27
	global_load_dwordx2 v[30:31], v[4:5], off offset:208
	global_load_dwordx2 v[26:27], v[2:3], off
	v_add_u32_e32 v4, 0x400, v142
	v_add_u32_e32 v5, 0xc00, v142
	s_load_dwordx2 s[14:15], s[0:1], 0x38
	s_load_dwordx4 s[8:11], s[6:7], 0x0
	v_cmp_gt_u16_e64 s[4:5], 50, v130
	s_waitcnt vmcnt(20)
	v_accvgpr_write_b32 a26, v50
	v_mul_f32_e32 v28, v7, v51
	v_mul_f32_e32 v29, v6, v51
	v_fmac_f32_e32 v28, v6, v50
	v_fma_f32 v29, v7, v50, -v29
	s_waitcnt vmcnt(18)
	v_mul_f32_e32 v6, v9, v49
	v_mul_f32_e32 v7, v8, v49
	v_fmac_f32_e32 v6, v8, v48
	v_fma_f32 v7, v9, v48, -v7
	s_waitcnt vmcnt(16)
	v_mul_f32_e32 v8, v11, v45
	v_mul_f32_e32 v9, v10, v45
	ds_write2_b64 v142, v[28:29], v[6:7] offset1:105
	s_waitcnt vmcnt(13)
	v_mul_f32_e32 v6, v13, v47
	v_mul_f32_e32 v7, v12, v47
	v_fmac_f32_e32 v8, v10, v44
	v_fma_f32 v9, v11, v44, -v9
	v_fmac_f32_e32 v6, v12, v46
	v_fma_f32 v7, v13, v46, -v7
	s_waitcnt vmcnt(12)
	v_mul_f32_e32 v10, v15, v41
	v_mul_f32_e32 v11, v14, v41
	ds_write2_b64 v4, v[8:9], v[6:7] offset0:82 offset1:187
	s_waitcnt vmcnt(10)
	v_mul_f32_e32 v6, v17, v43
	v_mul_f32_e32 v7, v16, v43
	v_fmac_f32_e32 v10, v14, v40
	v_fma_f32 v11, v15, v40, -v11
	v_fmac_f32_e32 v6, v16, v42
	v_fma_f32 v7, v17, v42, -v7
	ds_write2_b64 v5, v[10:11], v[6:7] offset0:36 offset1:141
	s_waitcnt vmcnt(8)
	v_mul_f32_e32 v6, v18, v39
	v_mul_f32_e32 v8, v19, v39
	v_fma_f32 v9, v19, v38, -v6
	s_waitcnt vmcnt(6)
	v_mul_f32_e32 v10, v21, v37
	v_mul_f32_e32 v6, v20, v37
	v_fmac_f32_e32 v8, v18, v38
	v_fmac_f32_e32 v10, v20, v36
	v_fma_f32 v11, v21, v36, -v6
	v_add_u32_e32 v6, 0x1000, v142
	s_waitcnt vmcnt(4)
	v_mul_f32_e32 v7, v22, v35
	ds_write2_b64 v6, v[8:9], v[10:11] offset0:118 offset1:223
	v_mul_f32_e32 v8, v23, v35
	v_fma_f32 v9, v23, v34, -v7
	s_waitcnt vmcnt(2)
	v_mul_f32_e32 v10, v25, v33
	v_mul_f32_e32 v7, v24, v33
	v_fmac_f32_e32 v8, v22, v34
	v_fmac_f32_e32 v10, v24, v32
	v_fma_f32 v11, v25, v32, -v7
	v_add_u32_e32 v7, 0x1800, v142
	v_accvgpr_write_b32 a24, v48
	v_accvgpr_write_b32 a20, v44
	v_accvgpr_write_b32 a22, v46
	v_accvgpr_write_b32 a14, v40
	v_accvgpr_write_b32 a16, v42
	v_accvgpr_write_b32 a12, v38
	v_accvgpr_write_b32 a10, v36
	v_accvgpr_write_b32 a6, v34
	v_accvgpr_write_b32 a4, v32
	ds_write2_b64 v7, v[8:9], v[10:11] offset0:72 offset1:177
	s_waitcnt vmcnt(0)
	v_mul_f32_e32 v8, v27, v31
	v_mul_f32_e32 v9, v26, v31
	v_accvgpr_write_b32 a2, v30
	v_accvgpr_write_b32 a27, v51
	;; [unrolled: 1-line block ×11, first 2 shown]
	v_fmac_f32_e32 v8, v26, v30
	v_accvgpr_write_b32 a3, v31
	v_fma_f32 v9, v27, v30, -v9
	ds_write_b64 v142, v[8:9] offset:8400
	s_and_saveexec_b64 s[6:7], s[4:5]
	s_cbranch_execz .LBB0_3
; %bb.2:
	v_mov_b32_e32 v8, 0xffffe0e8
	s_mulk_i32 s13, 0xe0e8
	v_mad_u64_u32 v[2:3], s[18:19], s12, v8, v[2:3]
	s_sub_i32 s12, s13, s12
	v_add_u32_e32 v3, s12, v3
	v_accvgpr_read_b32 v45, a1
	global_load_dwordx2 v[8:9], v[2:3], off
	v_accvgpr_read_b32 v44, a0
	v_lshl_add_u64 v[2:3], v[2:3], 0, s[2:3]
	global_load_dwordx2 v[10:11], v[44:45], off offset:440
	global_load_dwordx2 v[12:13], v[2:3], off
	global_load_dwordx2 v[14:15], v[44:45], off offset:1280
	v_lshl_add_u64 v[2:3], v[2:3], 0, s[2:3]
	global_load_dwordx2 v[16:17], v[2:3], off
	global_load_dwordx2 v[18:19], v[44:45], off offset:2120
	global_load_dwordx2 v[20:21], v[44:45], off offset:2960
	v_lshl_add_u64 v[2:3], v[2:3], 0, s[2:3]
	global_load_dwordx2 v[22:23], v[2:3], off
	v_lshl_add_u64 v[2:3], v[2:3], 0, s[2:3]
	global_load_dwordx2 v[24:25], v[2:3], off
	global_load_dwordx2 v[26:27], v[44:45], off offset:3800
	v_lshl_add_u64 v[2:3], v[2:3], 0, s[2:3]
	global_load_dwordx2 v[28:29], v[2:3], off
	global_load_dwordx2 v[30:31], v[0:1], off offset:544
	;; [unrolled: 3-line block ×3, first 2 shown]
	global_load_dwordx2 v[36:37], v[0:1], off offset:2224
	v_lshl_add_u64 v[2:3], v[2:3], 0, s[2:3]
	global_load_dwordx2 v[38:39], v[2:3], off
	global_load_dwordx2 v[40:41], v[0:1], off offset:3064
	global_load_dwordx2 v[42:43], v[0:1], off offset:3904
	v_lshl_add_u64 v[0:1], v[2:3], 0, s[2:3]
	global_load_dwordx2 v[2:3], v[0:1], off
	v_add_co_u32_e32 v44, vcc, 0x2000, v44
	v_lshl_add_u64 v[0:1], v[0:1], 0, s[2:3]
	global_load_dwordx2 v[46:47], v[0:1], off
	v_addc_co_u32_e32 v45, vcc, 0, v45, vcc
	v_lshl_add_u64 v[0:1], v[0:1], 0, s[2:3]
	global_load_dwordx2 v[44:45], v[44:45], off offset:648
	v_add_u32_e32 v50, 0x800, v142
	global_load_dwordx2 v[0:1], v[0:1], off
	v_add_u32_e32 v51, 0x1400, v142
	s_waitcnt vmcnt(20)
	v_mul_f32_e32 v48, v9, v11
	v_mul_f32_e32 v11, v8, v11
	v_fmac_f32_e32 v48, v8, v10
	v_fma_f32 v49, v9, v10, -v11
	s_waitcnt vmcnt(18)
	v_mul_f32_e32 v8, v13, v15
	v_mul_f32_e32 v9, v12, v15
	v_fmac_f32_e32 v8, v12, v14
	v_fma_f32 v9, v13, v14, -v9
	s_waitcnt vmcnt(16)
	v_mul_f32_e32 v10, v17, v19
	v_mul_f32_e32 v11, v16, v19
	ds_write2_b64 v142, v[48:49], v[8:9] offset0:55 offset1:160
	s_waitcnt vmcnt(14)
	v_mul_f32_e32 v8, v23, v21
	v_mul_f32_e32 v9, v22, v21
	v_fmac_f32_e32 v10, v16, v18
	v_fma_f32 v11, v17, v18, -v11
	v_fmac_f32_e32 v8, v22, v20
	v_fma_f32 v9, v23, v20, -v9
	s_waitcnt vmcnt(12)
	v_mul_f32_e32 v12, v25, v27
	v_mul_f32_e32 v13, v24, v27
	ds_write2_b64 v50, v[10:11], v[8:9] offset0:9 offset1:114
	s_waitcnt vmcnt(10)
	v_mul_f32_e32 v8, v29, v31
	v_mul_f32_e32 v9, v28, v31
	v_fmac_f32_e32 v12, v24, v26
	v_fma_f32 v13, v25, v26, -v13
	;; [unrolled: 11-line block ×3, first 2 shown]
	v_fmac_f32_e32 v8, v38, v36
	v_fma_f32 v9, v39, v36, -v9
	s_waitcnt vmcnt(3)
	v_mul_f32_e32 v12, v3, v41
	v_mul_f32_e32 v13, v2, v41
	ds_write2_b64 v51, v[10:11], v[8:9] offset0:45 offset1:150
	v_fmac_f32_e32 v12, v2, v40
	v_fma_f32 v13, v3, v40, -v13
	s_waitcnt vmcnt(2)
	v_mul_f32_e32 v2, v47, v43
	v_mul_f32_e32 v3, v46, v43
	s_waitcnt vmcnt(0)
	v_mul_f32_e32 v8, v1, v45
	v_mul_f32_e32 v9, v0, v45
	v_fmac_f32_e32 v2, v46, v42
	v_fma_f32 v3, v47, v42, -v3
	v_fmac_f32_e32 v8, v0, v44
	v_fma_f32 v9, v1, v44, -v9
	ds_write2_b64 v7, v[12:13], v[2:3] offset0:127 offset1:232
	ds_write_b64 v142, v[8:9] offset:8840
.LBB0_3:
	s_or_b64 exec, exec, s[6:7]
	s_waitcnt lgkmcnt(0)
	; wave barrier
	s_waitcnt lgkmcnt(0)
	ds_read2_b64 v[20:23], v142 offset1:105
	ds_read2_b64 v[36:39], v4 offset0:82 offset1:187
	ds_read2_b64 v[32:35], v5 offset0:36 offset1:141
	ds_read2_b64 v[28:31], v6 offset0:118 offset1:223
	ds_read2_b64 v[24:27], v7 offset0:72 offset1:177
	ds_read_b64 v[62:63], v142 offset:8400
	v_mov_b32_e32 v0, 0
	v_mov_b32_e32 v1, 0
                                        ; implicit-def: $vgpr8
                                        ; implicit-def: $vgpr6
                                        ; implicit-def: $vgpr14
                                        ; implicit-def: $vgpr16
                                        ; implicit-def: $vgpr52
	s_and_saveexec_b64 s[2:3], s[4:5]
	s_cbranch_execz .LBB0_5
; %bb.4:
	v_add_u32_e32 v12, 0x800, v142
	v_add_u32_e32 v4, 0xc00, v142
	;; [unrolled: 1-line block ×3, first 2 shown]
	ds_read2_b64 v[16:19], v12 offset0:9 offset1:114
	v_add_u32_e32 v12, 0x1800, v142
	ds_read2_b64 v[0:3], v142 offset0:55 offset1:160
	ds_read2_b64 v[4:7], v4 offset0:91 offset1:196
	;; [unrolled: 1-line block ×4, first 2 shown]
	ds_read_b64 v[52:53], v142 offset:8840
.LBB0_5:
	s_or_b64 exec, exec, s[2:3]
	s_waitcnt lgkmcnt(5)
	v_pk_add_f32 v[64:65], v[20:21], v[22:23]
	s_waitcnt lgkmcnt(1)
	v_pk_add_f32 v[102:103], v[26:27], v[36:37]
	v_pk_add_f32 v[68:69], v[36:37], v[26:27] neg_lo:[0,1] neg_hi:[0,1]
	v_pk_add_f32 v[36:37], v[64:65], v[36:37]
	v_pk_add_f32 v[90:91], v[30:31], v[32:33]
	;; [unrolled: 1-line block ×3, first 2 shown]
	v_pk_add_f32 v[72:73], v[32:33], v[30:31] neg_lo:[0,1] neg_hi:[0,1]
	v_pk_add_f32 v[32:33], v[64:65], v[32:33]
	s_waitcnt lgkmcnt(0)
	v_pk_add_f32 v[48:49], v[2:3], v[52:53] neg_lo:[0,1] neg_hi:[0,1]
	s_mov_b32 s26, 0xbf68dda4
	v_pk_add_f32 v[50:51], v[16:17], v[14:15] neg_lo:[0,1] neg_hi:[0,1]
	v_pk_add_f32 v[64:65], v[32:33], v[34:35]
	v_pk_add_f32 v[106:107], v[62:63], v[22:23]
	v_pk_add_f32 v[66:67], v[22:23], v[62:63] neg_lo:[0,1] neg_hi:[0,1]
	v_pk_add_f32 v[86:87], v[28:29], v[34:35]
	v_pk_add_f32 v[78:79], v[34:35], v[28:29] neg_lo:[0,1] neg_hi:[0,1]
	v_pk_add_f32 v[44:45], v[52:53], v[2:3]
	s_mov_b32 s2, 0x3ed4b147
	v_pk_mul_f32 v[22:23], v[48:49], s[26:27] op_sel_hi:[1,0]
	v_pk_add_f32 v[46:47], v[14:15], v[16:17]
	v_pk_add_f32 v[40:41], v[6:7], v[8:9] neg_lo:[0,1] neg_hi:[0,1]
	s_mov_b32 s12, 0xbf0a6770
	v_pk_mul_f32 v[74:75], v[50:51], s[26:27] op_sel_hi:[1,0]
	s_mov_b32 s18, 0x3f0a6770
	v_pk_add_f32 v[28:29], v[64:65], v[28:29]
	v_pk_add_f32 v[98:99], v[24:25], v[38:39]
	v_pk_add_f32 v[70:71], v[38:39], v[24:25] neg_lo:[0,1] neg_hi:[0,1]
	v_pk_fma_f32 v[56:57], v[44:45], s[2:3], v[22:23] op_sel:[0,0,1] op_sel_hi:[1,0,0]
	v_pk_fma_f32 v[54:55], v[44:45], s[2:3], v[22:23] op_sel:[0,0,1] op_sel_hi:[1,0,0] neg_lo:[0,0,1] neg_hi:[0,0,1]
	v_pk_add_f32 v[22:23], v[8:9], v[6:7]
	s_mov_b32 s6, 0x3f575c64
	v_pk_mul_f32 v[60:61], v[48:49], s[12:13] op_sel_hi:[1,0]
	v_pk_fma_f32 v[36:37], v[46:47], s[2:3], v[74:75] op_sel:[0,0,1] op_sel_hi:[1,0,0]
	v_pk_fma_f32 v[38:39], v[46:47], s[2:3], v[74:75] op_sel:[0,0,1] op_sel_hi:[1,0,0] neg_lo:[0,0,1] neg_hi:[0,0,1]
	v_pk_mul_f32 v[74:75], v[40:41], s[18:19] op_sel_hi:[1,0]
	v_pk_add_f32 v[28:29], v[28:29], v[30:31]
	v_pk_fma_f32 v[58:59], v[44:45], s[6:7], v[60:61] op_sel:[0,0,1] op_sel_hi:[1,0,0]
	v_pk_fma_f32 v[60:61], v[44:45], s[6:7], v[60:61] op_sel:[0,0,1] op_sel_hi:[1,0,0] neg_lo:[0,0,1] neg_hi:[0,0,1]
	v_pk_fma_f32 v[32:33], v[22:23], s[6:7], v[74:75] op_sel:[0,0,1] op_sel_hi:[1,0,0]
	v_pk_fma_f32 v[34:35], v[22:23], s[6:7], v[74:75] op_sel:[0,0,1] op_sel_hi:[1,0,0] neg_lo:[0,0,1] neg_hi:[0,0,1]
	v_pk_add_f32 v[24:25], v[28:29], v[24:25]
	v_mov_b32_e32 v93, v107
	v_mov_b32_e32 v107, v66
	s_mov_b32 s7, s12
	v_pk_add_f32 v[24:25], v[24:25], v[26:27]
	v_mov_b32_e32 v92, v67
	s_mov_b32 s13, s6
	v_pk_mul_f32 v[104:105], v[106:107], s[6:7]
	v_mov_b32_e32 v65, v103
	v_mov_b32_e32 v103, v68
	s_mov_b32 s3, s26
	v_pk_add_f32 v[124:125], v[24:25], v[62:63]
	v_pk_fma_f32 v[24:25], v[92:93], s[12:13], v[104:105] neg_lo:[1,0,0] neg_hi:[1,0,0]
	v_pk_fma_f32 v[100:101], v[92:93], s[12:13], v[104:105]
	v_mov_b32_e32 v64, v69
	s_mov_b32 s27, s2
	v_pk_mul_f32 v[84:85], v[102:103], s[2:3]
	v_mov_b32_e32 v25, v101
	v_pk_fma_f32 v[26:27], v[64:65], s[26:27], v[84:85] neg_lo:[1,0,0] neg_hi:[1,0,0]
	v_pk_fma_f32 v[82:83], v[64:65], s[26:27], v[84:85]
	v_pk_add_f32 v[24:25], v[20:21], v[24:25]
	v_mov_b32_e32 v27, v83
	v_pk_add_f32 v[74:75], v[26:27], v[24:25]
	v_pk_add_f32 v[26:27], v[18:19], v[12:13] neg_lo:[0,1] neg_hi:[0,1]
	s_mov_b32 s22, 0xbf7d64f0
	v_pk_add_f32 v[42:43], v[12:13], v[18:19]
	s_mov_b32 s20, 0xbe11bafb
	v_pk_mul_f32 v[24:25], v[26:27], s[22:23] op_sel_hi:[1,0]
	s_mov_b32 s30, 0x3f7d64f0
	v_pk_add_f32 v[28:29], v[4:5], v[10:11] neg_lo:[0,1] neg_hi:[0,1]
	v_pk_fma_f32 v[66:67], v[42:43], s[20:21], v[24:25] op_sel:[0,0,1] op_sel_hi:[1,0,0]
	v_pk_fma_f32 v[68:69], v[42:43], s[20:21], v[24:25] op_sel:[0,0,1] op_sel_hi:[1,0,0] neg_lo:[0,0,1] neg_hi:[0,0,1]
	v_pk_add_f32 v[24:25], v[10:11], v[4:5]
	v_pk_mul_f32 v[62:63], v[28:29], s[30:31] op_sel_hi:[1,0]
	v_mov_b32_e32 v89, v99
	v_mov_b32_e32 v99, v70
	v_pk_fma_f32 v[30:31], v[24:25], s[20:21], v[62:63] op_sel:[0,0,1] op_sel_hi:[1,0,0]
	v_pk_fma_f32 v[62:63], v[24:25], s[20:21], v[62:63] op_sel:[0,0,1] op_sel_hi:[1,0,0] neg_lo:[0,0,1] neg_hi:[0,0,1]
	s_mov_b32 s21, s22
	v_mov_b32_e32 v88, v71
	s_mov_b32 s23, s20
	v_pk_mul_f32 v[110:111], v[98:99], s[20:21]
	s_mov_b32 s28, 0xbf4178ce
	v_pk_fma_f32 v[70:71], v[88:89], s[22:23], v[110:111] neg_lo:[1,0,0] neg_hi:[1,0,0]
	v_pk_fma_f32 v[108:109], v[88:89], s[22:23], v[110:111]
	v_mov_b32_e32 v112, v73
	v_mov_b32_e32 v71, v109
	v_mov_b32_e32 v113, v91
	v_mov_b32_e32 v91, v72
	s_mov_b32 s24, 0xbf27a4f4
	v_pk_mul_f32 v[72:73], v[50:51], s[28:29] op_sel_hi:[1,0]
	v_pk_mul_f32 v[76:77], v[28:29], s[28:29] op_sel_hi:[1,0]
	v_pk_add_f32 v[80:81], v[70:71], v[74:75]
	v_pk_fma_f32 v[70:71], v[46:47], s[24:25], v[72:73] op_sel:[0,0,1] op_sel_hi:[1,0,0]
	v_pk_fma_f32 v[72:73], v[46:47], s[24:25], v[72:73] op_sel:[0,0,1] op_sel_hi:[1,0,0] neg_lo:[0,0,1] neg_hi:[0,0,1]
	v_pk_fma_f32 v[74:75], v[24:25], s[24:25], v[76:77] op_sel:[0,0,1] op_sel_hi:[1,0,0]
	v_pk_fma_f32 v[76:77], v[24:25], s[24:25], v[76:77] op_sel:[0,0,1] op_sel_hi:[1,0,0] neg_lo:[0,0,1] neg_hi:[0,0,1]
	s_mov_b32 s25, s28
	s_mov_b32 s29, s24
	v_pk_mul_f32 v[116:117], v[90:91], s[24:25]
	s_mov_b32 s40, 0x3e903f40
	v_pk_fma_f32 v[94:95], v[112:113], s[28:29], v[116:117] neg_lo:[1,0,0] neg_hi:[1,0,0]
	v_pk_fma_f32 v[114:115], v[112:113], s[28:29], v[116:117]
	s_mov_b32 s36, 0xbe903f40
	v_mov_b32_e32 v95, v115
	v_pk_add_f32 v[126:127], v[94:95], v[80:81]
	s_mov_b32 s34, 0xbf75a155
	v_pk_mul_f32 v[80:81], v[26:27], s[40:41] op_sel_hi:[1,0]
	v_pk_mul_f32 v[96:97], v[40:41], s[36:37] op_sel_hi:[1,0]
	v_mov_b32_e32 v118, v79
	v_mov_b32_e32 v119, v87
	;; [unrolled: 1-line block ×3, first 2 shown]
	v_pk_fma_f32 v[78:79], v[42:43], s[34:35], v[80:81] op_sel:[0,0,1] op_sel_hi:[1,0,0]
	v_pk_fma_f32 v[80:81], v[42:43], s[34:35], v[80:81] op_sel:[0,0,1] op_sel_hi:[1,0,0] neg_lo:[0,0,1] neg_hi:[0,0,1]
	v_pk_fma_f32 v[94:95], v[22:23], s[34:35], v[96:97] op_sel:[0,0,1] op_sel_hi:[1,0,0]
	v_pk_fma_f32 v[96:97], v[22:23], s[34:35], v[96:97] op_sel:[0,0,1] op_sel_hi:[1,0,0] neg_lo:[0,0,1] neg_hi:[0,0,1]
	s_mov_b32 s35, s36
	s_mov_b32 s37, s34
	v_pk_mul_f32 v[122:123], v[86:87], s[34:35]
	v_mul_lo_u16_e32 v83, 11, v130
	v_pk_fma_f32 v[128:129], v[118:119], s[36:37], v[122:123] neg_lo:[1,0,0] neg_hi:[1,0,0]
	v_pk_fma_f32 v[120:121], v[118:119], s[36:37], v[122:123]
	v_lshlrev_b32_e32 v143, 3, v83
	v_mov_b32_e32 v129, v121
	v_pk_add_f32 v[126:127], v[128:129], v[126:127]
	s_waitcnt lgkmcnt(0)
	; wave barrier
	ds_write2_b64 v143, v[124:125], v[126:127] offset1:1
	v_pk_mul_f32 v[124:125], v[106:107], s[2:3]
	v_accvgpr_write_b32 a8, v130
	v_pk_fma_f32 v[126:127], v[92:93], s[26:27], v[124:125] neg_lo:[1,0,0] neg_hi:[1,0,0]
	v_pk_fma_f32 v[128:129], v[92:93], s[26:27], v[124:125]
	v_accvgpr_write_b32 a9, v131
	v_pk_mul_f32 v[130:131], v[102:103], s[24:25]
	v_mov_b32_e32 v127, v129
	v_pk_fma_f32 v[132:133], v[64:65], s[28:29], v[130:131] neg_lo:[1,0,0] neg_hi:[1,0,0]
	v_pk_fma_f32 v[134:135], v[64:65], s[28:29], v[130:131]
	v_pk_add_f32 v[126:127], v[20:21], v[126:127]
	v_mov_b32_e32 v133, v135
	s_mov_b32 s38, s34
	s_mov_b32 s39, s40
	v_pk_add_f32 v[126:127], v[132:133], v[126:127]
	s_mov_b32 s41, s34
	v_pk_mul_f32 v[132:133], v[98:99], s[38:39]
	s_mov_b32 s42, s20
	v_pk_fma_f32 v[136:137], v[88:89], s[40:41], v[132:133] neg_lo:[1,0,0] neg_hi:[1,0,0]
	v_pk_fma_f32 v[138:139], v[88:89], s[40:41], v[132:133]
	s_mov_b32 s43, s30
	v_mov_b32_e32 v137, v139
	v_pk_add_f32 v[126:127], v[136:137], v[126:127]
	s_mov_b32 s31, s20
	v_pk_mul_f32 v[136:137], v[90:91], s[42:43]
	s_mov_b32 s44, s6
	v_pk_fma_f32 v[140:141], v[112:113], s[30:31], v[136:137] neg_lo:[1,0,0] neg_hi:[1,0,0]
	v_pk_fma_f32 v[172:173], v[112:113], s[30:31], v[136:137]
	s_mov_b32 s45, s18
	v_mov_b32_e32 v141, v173
	v_pk_add_f32 v[126:127], v[140:141], v[126:127]
	s_mov_b32 s19, s6
	v_pk_mul_f32 v[140:141], v[86:87], s[44:45]
	v_pk_mul_f32 v[182:183], v[102:103], s[38:39]
	v_pk_fma_f32 v[174:175], v[118:119], s[18:19], v[140:141] neg_lo:[1,0,0] neg_hi:[1,0,0]
	v_pk_fma_f32 v[176:177], v[118:119], s[18:19], v[140:141]
	v_pk_fma_f32 v[184:185], v[64:65], s[40:41], v[182:183] neg_lo:[1,0,0] neg_hi:[1,0,0]
	v_mov_b32_e32 v175, v177
	v_pk_add_f32 v[126:127], v[174:175], v[126:127]
	v_pk_mul_f32 v[174:175], v[106:107], s[20:21]
	v_pk_fma_f32 v[186:187], v[64:65], s[40:41], v[182:183]
	v_pk_fma_f32 v[178:179], v[92:93], s[22:23], v[174:175] neg_lo:[1,0,0] neg_hi:[1,0,0]
	v_pk_fma_f32 v[180:181], v[92:93], s[22:23], v[174:175]
	s_mov_b32 s38, 0x3f68dda4
	v_mov_b32_e32 v179, v181
	v_pk_add_f32 v[178:179], v[20:21], v[178:179]
	v_mov_b32_e32 v185, v187
	s_mov_b32 s3, s38
	v_pk_add_f32 v[178:179], v[184:185], v[178:179]
	s_mov_b32 s39, s2
	v_pk_mul_f32 v[184:185], v[98:99], s[2:3]
	v_pk_mul_f32 v[200:201], v[102:103], s[42:43]
	v_pk_fma_f32 v[188:189], v[88:89], s[38:39], v[184:185] neg_lo:[1,0,0] neg_hi:[1,0,0]
	v_pk_fma_f32 v[190:191], v[88:89], s[38:39], v[184:185]
	v_pk_fma_f32 v[202:203], v[64:65], s[30:31], v[200:201] neg_lo:[1,0,0] neg_hi:[1,0,0]
	v_mov_b32_e32 v189, v191
	v_pk_add_f32 v[178:179], v[188:189], v[178:179]
	v_pk_mul_f32 v[188:189], v[90:91], s[6:7]
	v_pk_fma_f32 v[204:205], v[64:65], s[30:31], v[200:201]
	v_pk_fma_f32 v[192:193], v[112:113], s[12:13], v[188:189] neg_lo:[1,0,0] neg_hi:[1,0,0]
	v_pk_fma_f32 v[194:195], v[112:113], s[12:13], v[188:189]
	v_mov_b32_e32 v203, v205
	v_mov_b32_e32 v193, v195
	v_pk_add_f32 v[178:179], v[192:193], v[178:179]
	v_pk_mul_f32 v[192:193], v[86:87], s[24:25]
	v_pk_mul_f32 v[102:103], v[102:103], s[44:45]
	v_pk_fma_f32 v[196:197], v[118:119], s[28:29], v[192:193] neg_lo:[1,0,0] neg_hi:[1,0,0]
	v_pk_fma_f32 v[198:199], v[118:119], s[28:29], v[192:193]
	v_pk_fma_f32 v[220:221], v[64:65], s[18:19], v[102:103] neg_lo:[1,0,0] neg_hi:[1,0,0]
	v_mov_b32_e32 v197, v199
	v_pk_add_f32 v[178:179], v[196:197], v[178:179]
	ds_write2_b64 v143, v[126:127], v[178:179] offset0:2 offset1:3
	v_pk_mul_f32 v[126:127], v[106:107], s[24:25]
	v_pk_mul_f32 v[106:107], v[106:107], s[34:35]
	v_pk_fma_f32 v[178:179], v[92:93], s[28:29], v[126:127] neg_lo:[1,0,0] neg_hi:[1,0,0]
	v_pk_fma_f32 v[196:197], v[92:93], s[28:29], v[126:127]
	v_pk_fma_f32 v[218:219], v[92:93], s[36:37], v[106:107]
	v_mov_b32_e32 v179, v197
	v_pk_add_f32 v[178:179], v[20:21], v[178:179]
	v_pk_fma_f32 v[222:223], v[64:65], s[18:19], v[102:103]
	v_pk_add_f32 v[178:179], v[202:203], v[178:179]
	v_pk_mul_f32 v[202:203], v[98:99], s[6:7]
	v_mov_b32_e32 v221, v223
	v_pk_fma_f32 v[206:207], v[88:89], s[12:13], v[202:203] neg_lo:[1,0,0] neg_hi:[1,0,0]
	v_pk_fma_f32 v[208:209], v[88:89], s[12:13], v[202:203]
	v_pk_mul_f32 v[98:99], v[98:99], s[24:25]
	v_mov_b32_e32 v207, v209
	v_pk_add_f32 v[178:179], v[206:207], v[178:179]
	v_pk_mul_f32 v[206:207], v[90:91], s[34:35]
	v_pk_fma_f32 v[224:225], v[88:89], s[28:29], v[98:99]
	v_pk_fma_f32 v[210:211], v[112:113], s[36:37], v[206:207] neg_lo:[1,0,0] neg_hi:[1,0,0]
	v_pk_fma_f32 v[212:213], v[112:113], s[36:37], v[206:207]
	v_pk_mul_f32 v[90:91], v[90:91], s[2:3]
	v_mov_b32_e32 v211, v213
	v_pk_add_f32 v[178:179], v[210:211], v[178:179]
	v_pk_mul_f32 v[210:211], v[86:87], s[2:3]
	v_pk_fma_f32 v[102:103], v[64:65], s[18:19], v[102:103] neg_lo:[0,0,1] neg_hi:[0,0,1]
	v_pk_fma_f32 v[214:215], v[118:119], s[38:39], v[210:211] neg_lo:[1,0,0] neg_hi:[1,0,0]
	v_pk_fma_f32 v[216:217], v[118:119], s[38:39], v[210:211]
	v_pk_fma_f32 v[226:227], v[112:113], s[38:39], v[90:91]
	v_mov_b32_e32 v215, v217
	v_pk_add_f32 v[178:179], v[214:215], v[178:179]
	v_pk_fma_f32 v[214:215], v[92:93], s[36:37], v[106:107] neg_lo:[1,0,0] neg_hi:[1,0,0]
	v_pk_fma_f32 v[106:107], v[92:93], s[36:37], v[106:107] neg_lo:[0,0,1] neg_hi:[0,0,1]
	v_mov_b32_e32 v215, v219
	v_pk_add_f32 v[214:215], v[20:21], v[214:215]
	v_mov_b32_e32 v219, v107
	v_pk_add_f32 v[214:215], v[220:221], v[214:215]
	v_pk_fma_f32 v[220:221], v[88:89], s[28:29], v[98:99] neg_lo:[1,0,0] neg_hi:[1,0,0]
	v_mov_b32_e32 v223, v103
	v_mov_b32_e32 v221, v225
	v_pk_add_f32 v[214:215], v[220:221], v[214:215]
	v_pk_fma_f32 v[220:221], v[112:113], s[38:39], v[90:91] neg_lo:[1,0,0] neg_hi:[1,0,0]
	v_pk_add_f32 v[102:103], v[20:21], v[218:219]
	v_pk_fma_f32 v[98:99], v[88:89], s[28:29], v[98:99] neg_lo:[0,0,1] neg_hi:[0,0,1]
	v_mov_b32_e32 v221, v227
	v_pk_mul_f32 v[86:87], v[86:87], s[20:21]
	v_pk_add_f32 v[102:103], v[222:223], v[102:103]
	v_mov_b32_e32 v225, v99
	v_pk_fma_f32 v[90:91], v[112:113], s[38:39], v[90:91] neg_lo:[0,0,1] neg_hi:[0,0,1]
	v_pk_add_f32 v[214:215], v[220:221], v[214:215]
	v_pk_fma_f32 v[220:221], v[118:119], s[22:23], v[86:87] neg_lo:[1,0,0] neg_hi:[1,0,0]
	v_pk_fma_f32 v[228:229], v[118:119], s[22:23], v[86:87]
	v_pk_add_f32 v[98:99], v[224:225], v[102:103]
	v_mov_b32_e32 v227, v91
	v_pk_fma_f32 v[86:87], v[118:119], s[22:23], v[86:87] neg_lo:[0,0,1] neg_hi:[0,0,1]
	v_mov_b32_e32 v221, v229
	v_pk_add_f32 v[90:91], v[226:227], v[98:99]
	v_mov_b32_e32 v229, v87
	v_pk_add_f32 v[86:87], v[228:229], v[90:91]
	v_pk_fma_f32 v[90:91], v[92:93], s[28:29], v[126:127] neg_lo:[0,0,1] neg_hi:[0,0,1]
	v_pk_fma_f32 v[98:99], v[88:89], s[12:13], v[202:203] neg_lo:[0,0,1] neg_hi:[0,0,1]
	v_mov_b32_e32 v197, v91
	v_pk_fma_f32 v[90:91], v[64:65], s[30:31], v[200:201] neg_lo:[0,0,1] neg_hi:[0,0,1]
	v_mov_b32_e32 v209, v99
	v_mov_b32_e32 v205, v91
	v_pk_add_f32 v[90:91], v[20:21], v[196:197]
	v_pk_fma_f32 v[98:99], v[112:113], s[36:37], v[206:207] neg_lo:[0,0,1] neg_hi:[0,0,1]
	v_pk_add_f32 v[90:91], v[204:205], v[90:91]
	v_mov_b32_e32 v213, v99
	v_pk_add_f32 v[90:91], v[208:209], v[90:91]
	v_pk_fma_f32 v[98:99], v[118:119], s[38:39], v[210:211] neg_lo:[0,0,1] neg_hi:[0,0,1]
	v_pk_add_f32 v[90:91], v[212:213], v[90:91]
	v_mov_b32_e32 v217, v99
	v_pk_add_f32 v[90:91], v[216:217], v[90:91]
	ds_write2_b64 v143, v[86:87], v[90:91] offset0:6 offset1:7
	v_pk_fma_f32 v[90:91], v[88:89], s[38:39], v[184:185] neg_lo:[0,0,1] neg_hi:[0,0,1]
	v_pk_fma_f32 v[86:87], v[92:93], s[22:23], v[174:175] neg_lo:[0,0,1] neg_hi:[0,0,1]
	v_mov_b32_e32 v191, v91
	v_pk_fma_f32 v[90:91], v[112:113], s[12:13], v[188:189] neg_lo:[0,0,1] neg_hi:[0,0,1]
	v_mov_b32_e32 v181, v87
	v_mov_b32_e32 v195, v91
	v_pk_fma_f32 v[90:91], v[118:119], s[28:29], v[192:193] neg_lo:[0,0,1] neg_hi:[0,0,1]
	v_pk_fma_f32 v[86:87], v[64:65], s[40:41], v[182:183] neg_lo:[0,0,1] neg_hi:[0,0,1]
	v_mov_b32_e32 v199, v91
	v_pk_fma_f32 v[90:91], v[92:93], s[26:27], v[124:125] neg_lo:[0,0,1] neg_hi:[0,0,1]
	v_mov_b32_e32 v187, v87
	v_mov_b32_e32 v129, v91
	v_pk_fma_f32 v[90:91], v[64:65], s[28:29], v[130:131] neg_lo:[0,0,1] neg_hi:[0,0,1]
	v_pk_add_f32 v[86:87], v[20:21], v[180:181]
	v_mov_b32_e32 v135, v91
	v_pk_add_f32 v[90:91], v[20:21], v[128:129]
	v_pk_fma_f32 v[98:99], v[88:89], s[40:41], v[132:133] neg_lo:[0,0,1] neg_hi:[0,0,1]
	v_pk_add_f32 v[86:87], v[186:187], v[86:87]
	v_pk_add_f32 v[90:91], v[134:135], v[90:91]
	v_mov_b32_e32 v139, v99
	v_pk_fma_f32 v[98:99], v[112:113], s[30:31], v[136:137] neg_lo:[0,0,1] neg_hi:[0,0,1]
	v_pk_add_f32 v[86:87], v[190:191], v[86:87]
	v_pk_add_f32 v[90:91], v[138:139], v[90:91]
	v_mov_b32_e32 v173, v99
	;; [unrolled: 4-line block ×3, first 2 shown]
	v_pk_add_f32 v[86:87], v[198:199], v[86:87]
	v_pk_add_f32 v[90:91], v[176:177], v[90:91]
	ds_write2_b64 v143, v[86:87], v[90:91] offset0:8 offset1:9
	v_pk_fma_f32 v[86:87], v[92:93], s[12:13], v[104:105] neg_lo:[0,0,1] neg_hi:[0,0,1]
	v_mov_b32_e32 v90, v70
	v_mov_b32_e32 v101, v87
	;; [unrolled: 1-line block ×4, first 2 shown]
	v_pk_add_f32 v[86:87], v[86:87], v[0:1]
	v_mov_b32_e32 v91, v73
	v_pk_fma_f32 v[64:65], v[64:65], s[26:27], v[84:85] neg_lo:[0,0,1] neg_hi:[0,0,1]
	v_pk_add_f32 v[20:21], v[20:21], v[100:101]
	v_pk_add_f32 v[86:87], v[90:91], v[86:87]
	v_mov_b32_e32 v90, v78
	v_mov_b32_e32 v91, v81
	;; [unrolled: 1-line block ×3, first 2 shown]
	v_pk_fma_f32 v[64:65], v[88:89], s[22:23], v[110:111] neg_lo:[0,0,1] neg_hi:[0,0,1]
	v_pk_add_f32 v[86:87], v[90:91], v[86:87]
	v_mov_b32_e32 v90, v58
	v_mov_b32_e32 v91, v61
	v_pk_add_f32 v[20:21], v[82:83], v[20:21]
	v_mov_b32_e32 v109, v65
	v_pk_fma_f32 v[64:65], v[112:113], s[28:29], v[116:117] neg_lo:[0,0,1] neg_hi:[0,0,1]
	v_mov_b32_e32 v92, v36
	v_mov_b32_e32 v93, v39
	v_pk_add_f32 v[90:91], v[90:91], v[0:1]
	v_pk_add_f32 v[20:21], v[108:109], v[20:21]
	v_mov_b32_e32 v115, v65
	v_pk_fma_f32 v[64:65], v[118:119], s[36:37], v[122:123] neg_lo:[0,0,1] neg_hi:[0,0,1]
	v_accvgpr_read_b32 v125, a9
	v_pk_add_f32 v[90:91], v[92:93], v[90:91]
	v_mov_b32_e32 v92, v66
	v_mov_b32_e32 v93, v69
	v_pk_add_f32 v[20:21], v[114:115], v[20:21]
	v_mov_b32_e32 v121, v65
	s_load_dwordx2 s[0:1], s[0:1], 0x8
	v_accvgpr_read_b32 v124, a8
	v_pk_add_f32 v[90:91], v[92:93], v[90:91]
	v_mov_b32_e32 v92, v74
	v_mov_b32_e32 v93, v77
	v_pk_add_f32 v[20:21], v[120:121], v[20:21]
	v_pk_add_f32 v[90:91], v[92:93], v[90:91]
	v_mov_b32_e32 v92, v30
	v_mov_b32_e32 v93, v63
	ds_write_b64 v143, v[20:21] offset:80
	v_mov_b32_e32 v20, v94
	v_mov_b32_e32 v21, v97
	v_lshl_add_u64 v[100:101], v[124:125], 0, 55
	v_pk_add_f32 v[86:87], v[92:93], v[86:87]
	v_mov_b32_e32 v92, v32
	v_mov_b32_e32 v93, v35
	v_pk_add_f32 v[64:65], v[20:21], v[90:91]
	v_mul_u32_u24_e32 v20, 11, v100
	v_pk_add_f32 v[214:215], v[220:221], v[214:215]
	v_pk_add_f32 v[86:87], v[92:93], v[86:87]
	v_accvgpr_write_b32 a19, v20
	ds_write2_b64 v143, v[178:179], v[214:215] offset0:4 offset1:5
	s_and_saveexec_b64 s[26:27], s[4:5]
	s_cbranch_execz .LBB0_7
; %bb.6:
	v_pk_add_f32 v[2:3], v[2:3], v[0:1]
	v_mov_b32_e32 v61, v59
	v_pk_add_f32 v[2:3], v[16:17], v[2:3]
	v_mov_b32_e32 v39, v37
	v_pk_add_f32 v[2:3], v[18:19], v[2:3]
	v_mov_b32_e32 v69, v67
	v_pk_add_f32 v[2:3], v[4:5], v[2:3]
	v_pk_add_f32 v[4:5], v[60:61], v[0:1]
	;; [unrolled: 1-line block ×7, first 2 shown]
	v_mov_b32_e32 v77, v75
	v_pk_add_f32 v[2:3], v[12:13], v[2:3]
	v_accvgpr_read_b32 v20, a19
	v_pk_add_f32 v[2:3], v[14:15], v[2:3]
	v_pk_add_f32 v[4:5], v[76:77], v[4:5]
	v_mov_b32_e32 v97, v95
	v_lshlrev_b32_e32 v70, 3, v20
	v_pk_add_f32 v[2:3], v[52:53], v[2:3]
	v_pk_add_f32 v[4:5], v[96:97], v[4:5]
	ds_write2_b64 v70, v[2:3], v[4:5] offset1:1
	v_pk_mul_f32 v[4:5], v[48:49], s[22:23] op_sel_hi:[1,0]
	v_pk_mul_f32 v[10:11], v[50:51], s[40:41] op_sel_hi:[1,0]
	v_pk_fma_f32 v[6:7], v[44:45], s[20:21], v[4:5] op_sel:[0,0,1] op_sel_hi:[1,0,0] neg_lo:[0,0,1] neg_hi:[0,0,1]
	v_pk_fma_f32 v[4:5], v[44:45], s[20:21], v[4:5] op_sel:[0,0,1] op_sel_hi:[1,0,0]
	v_mov_b32_e32 v8, v6
	v_mov_b32_e32 v9, v5
	v_pk_fma_f32 v[12:13], v[46:47], s[34:35], v[10:11] op_sel:[0,0,1] op_sel_hi:[1,0,0] neg_lo:[0,0,1] neg_hi:[0,0,1]
	v_pk_fma_f32 v[10:11], v[46:47], s[34:35], v[10:11] op_sel:[0,0,1] op_sel_hi:[1,0,0]
	v_pk_add_f32 v[8:9], v[8:9], v[0:1]
	v_mov_b32_e32 v14, v12
	v_mov_b32_e32 v15, v11
	v_pk_add_f32 v[8:9], v[14:15], v[8:9]
	v_pk_mul_f32 v[14:15], v[26:27], s[38:39] op_sel_hi:[1,0]
	v_mov_b32_e32 v55, v57
	v_pk_fma_f32 v[16:17], v[42:43], s[2:3], v[14:15] op_sel:[0,0,1] op_sel_hi:[1,0,0] neg_lo:[0,0,1] neg_hi:[0,0,1]
	v_pk_fma_f32 v[14:15], v[42:43], s[2:3], v[14:15] op_sel:[0,0,1] op_sel_hi:[1,0,0]
	v_mov_b32_e32 v18, v16
	v_mov_b32_e32 v19, v15
	v_pk_add_f32 v[8:9], v[18:19], v[8:9]
	v_pk_mul_f32 v[18:19], v[28:29], s[12:13] op_sel_hi:[1,0]
	v_pk_add_f32 v[2:3], v[54:55], v[0:1]
	v_mov_b32_e32 v73, v71
	v_pk_fma_f32 v[20:21], v[24:25], s[6:7], v[18:19] op_sel:[0,0,1] op_sel_hi:[1,0,0] neg_lo:[0,0,1] neg_hi:[0,0,1]
	v_pk_fma_f32 v[18:19], v[24:25], s[6:7], v[18:19] op_sel:[0,0,1] op_sel_hi:[1,0,0]
	v_pk_add_f32 v[2:3], v[72:73], v[2:3]
	v_mov_b32_e32 v81, v79
	v_mov_b32_e32 v63, v31
	;; [unrolled: 1-line block ×4, first 2 shown]
	v_pk_add_f32 v[2:3], v[80:81], v[2:3]
	v_pk_add_f32 v[8:9], v[30:31], v[8:9]
	v_pk_mul_f32 v[30:31], v[40:41], s[28:29] op_sel_hi:[1,0]
	v_pk_add_f32 v[2:3], v[62:63], v[2:3]
	v_mov_b32_e32 v35, v33
	v_pk_fma_f32 v[32:33], v[22:23], s[24:25], v[30:31] op_sel:[0,0,1] op_sel_hi:[1,0,0] neg_lo:[0,0,1] neg_hi:[0,0,1]
	v_pk_fma_f32 v[30:31], v[22:23], s[24:25], v[30:31] op_sel:[0,0,1] op_sel_hi:[1,0,0]
	v_pk_add_f32 v[2:3], v[34:35], v[2:3]
	v_mov_b32_e32 v34, v32
	v_mov_b32_e32 v35, v31
	v_pk_add_f32 v[8:9], v[34:35], v[8:9]
	ds_write2_b64 v70, v[2:3], v[8:9] offset0:2 offset1:3
	v_pk_mul_f32 v[2:3], v[48:49], s[28:29] op_sel_hi:[1,0]
	v_pk_mul_f32 v[8:9], v[50:51], s[30:31] op_sel_hi:[1,0]
	v_pk_fma_f32 v[52:53], v[44:45], s[24:25], v[2:3] op_sel:[0,0,1] op_sel_hi:[1,0,0] neg_lo:[0,0,1] neg_hi:[0,0,1]
	v_pk_fma_f32 v[2:3], v[44:45], s[24:25], v[2:3] op_sel:[0,0,1] op_sel_hi:[1,0,0]
	v_mov_b32_e32 v54, v52
	v_mov_b32_e32 v55, v3
	v_pk_fma_f32 v[56:57], v[46:47], s[20:21], v[8:9] op_sel:[0,0,1] op_sel_hi:[1,0,0] neg_lo:[0,0,1] neg_hi:[0,0,1]
	v_pk_fma_f32 v[8:9], v[46:47], s[20:21], v[8:9] op_sel:[0,0,1] op_sel_hi:[1,0,0]
	v_pk_mul_f32 v[34:35], v[26:27], s[12:13] op_sel_hi:[1,0]
	v_pk_add_f32 v[54:55], v[54:55], v[0:1]
	v_mov_b32_e32 v58, v56
	v_mov_b32_e32 v59, v9
	v_pk_add_f32 v[54:55], v[58:59], v[54:55]
	v_pk_fma_f32 v[58:59], v[42:43], s[6:7], v[34:35] op_sel:[0,0,1] op_sel_hi:[1,0,0] neg_lo:[0,0,1] neg_hi:[0,0,1]
	v_pk_fma_f32 v[34:35], v[42:43], s[6:7], v[34:35] op_sel:[0,0,1] op_sel_hi:[1,0,0]
	v_pk_mul_f32 v[36:37], v[28:29], s[36:37] op_sel_hi:[1,0]
	v_mov_b32_e32 v60, v58
	v_mov_b32_e32 v61, v35
	v_pk_add_f32 v[54:55], v[60:61], v[54:55]
	v_pk_fma_f32 v[60:61], v[24:25], s[34:35], v[36:37] op_sel:[0,0,1] op_sel_hi:[1,0,0] neg_lo:[0,0,1] neg_hi:[0,0,1]
	v_pk_fma_f32 v[36:37], v[24:25], s[34:35], v[36:37] op_sel:[0,0,1] op_sel_hi:[1,0,0]
	v_pk_mul_f32 v[38:39], v[40:41], s[38:39] op_sel_hi:[1,0]
	v_mov_b32_e32 v62, v60
	v_mov_b32_e32 v63, v37
	v_pk_add_f32 v[54:55], v[62:63], v[54:55]
	v_pk_fma_f32 v[62:63], v[22:23], s[2:3], v[38:39] op_sel:[0,0,1] op_sel_hi:[1,0,0] neg_lo:[0,0,1] neg_hi:[0,0,1]
	v_pk_fma_f32 v[38:39], v[22:23], s[2:3], v[38:39] op_sel:[0,0,1] op_sel_hi:[1,0,0]
	v_mov_b32_e32 v66, v62
	v_mov_b32_e32 v67, v39
	v_pk_mul_f32 v[48:49], v[48:49], s[36:37] op_sel_hi:[1,0]
	v_pk_add_f32 v[54:55], v[66:67], v[54:55]
	v_pk_fma_f32 v[66:67], v[44:45], s[34:35], v[48:49] op_sel:[0,0,1] op_sel_hi:[1,0,0] neg_lo:[0,0,1] neg_hi:[0,0,1]
	v_pk_fma_f32 v[44:45], v[44:45], s[34:35], v[48:49] op_sel:[0,0,1] op_sel_hi:[1,0,0]
	v_pk_mul_f32 v[50:51], v[50:51], s[18:19] op_sel_hi:[1,0]
	v_mov_b32_e32 v48, v66
	v_mov_b32_e32 v49, v45
	v_pk_fma_f32 v[68:69], v[46:47], s[6:7], v[50:51] op_sel:[0,0,1] op_sel_hi:[1,0,0] neg_lo:[0,0,1] neg_hi:[0,0,1]
	v_pk_fma_f32 v[46:47], v[46:47], s[6:7], v[50:51] op_sel:[0,0,1] op_sel_hi:[1,0,0]
	v_pk_add_f32 v[48:49], v[48:49], v[0:1]
	v_mov_b32_e32 v50, v68
	v_mov_b32_e32 v51, v47
	v_pk_mul_f32 v[26:27], v[26:27], s[28:29] op_sel_hi:[1,0]
	v_pk_add_f32 v[48:49], v[50:51], v[48:49]
	v_pk_fma_f32 v[50:51], v[42:43], s[24:25], v[26:27] op_sel:[0,0,1] op_sel_hi:[1,0,0] neg_lo:[0,0,1] neg_hi:[0,0,1]
	v_pk_fma_f32 v[26:27], v[42:43], s[24:25], v[26:27] op_sel:[0,0,1] op_sel_hi:[1,0,0]
	v_mov_b32_e32 v42, v50
	v_mov_b32_e32 v43, v27
	v_pk_mul_f32 v[28:29], v[28:29], s[38:39] op_sel_hi:[1,0]
	v_pk_add_f32 v[42:43], v[42:43], v[48:49]
	v_pk_fma_f32 v[48:49], v[24:25], s[2:3], v[28:29] op_sel:[0,0,1] op_sel_hi:[1,0,0] neg_lo:[0,0,1] neg_hi:[0,0,1]
	v_pk_fma_f32 v[24:25], v[24:25], s[2:3], v[28:29] op_sel:[0,0,1] op_sel_hi:[1,0,0]
	;; [unrolled: 6-line block ×3, first 2 shown]
	v_mov_b32_e32 v40, v42
	v_mov_b32_e32 v41, v23
	v_pk_add_f32 v[28:29], v[40:41], v[28:29]
	v_mov_b32_e32 v45, v67
	v_mov_b32_e32 v3, v53
	;; [unrolled: 1-line block ×3, first 2 shown]
	ds_write2_b64 v70, v[54:55], v[28:29] offset0:4 offset1:5
	v_pk_add_f32 v[28:29], v[44:45], v[0:1]
	v_mov_b32_e32 v47, v69
	v_pk_add_f32 v[2:3], v[2:3], v[0:1]
	v_mov_b32_e32 v9, v57
	;; [unrolled: 2-line block ×12, first 2 shown]
	v_pk_add_f32 v[22:23], v[22:23], v[24:25]
	v_pk_add_f32 v[2:3], v[38:39], v[2:3]
	;; [unrolled: 1-line block ×3, first 2 shown]
	ds_write2_b64 v70, v[22:23], v[2:3] offset0:6 offset1:7
	ds_write2_b64 v70, v[0:1], v[86:87] offset0:8 offset1:9
	ds_write_b64 v70, v[64:65] offset:80
.LBB0_7:
	s_or_b64 exec, exec, s[26:27]
	v_add_u32_e32 v0, 0x400, v142
	s_waitcnt lgkmcnt(0)
	; wave barrier
	s_waitcnt lgkmcnt(0)
	ds_read2_b64 v[82:85], v0 offset0:103 offset1:158
	v_add_u32_e32 v0, 0xc00, v142
	ds_read2_b64 v[78:81], v0 offset0:78 offset1:133
	v_add_u32_e32 v0, 0x1000, v142
	v_add_u32_e32 v1, 0x1800, v142
	;; [unrolled: 1-line block ×3, first 2 shown]
	ds_read2_b64 v[66:69], v142 offset1:55
	ds_read2_b64 v[74:77], v0 offset0:181 offset1:236
	ds_read2_b64 v[70:73], v1 offset0:156 offset1:211
	;; [unrolled: 1-line block ×6, first 2 shown]
	v_add_u32_e32 v0, 0x2000, v142
	ds_read2_b64 v[12:15], v0 offset0:10 offset1:65
	v_cmp_gt_u16_e64 s[2:3], 11, v124
                                        ; implicit-def: $vgpr16
                                        ; implicit-def: $vgpr88
                                        ; implicit-def: $vgpr90
                                        ; implicit-def: $vgpr94
                                        ; implicit-def: $vgpr92
	s_and_saveexec_b64 s[6:7], s[2:3]
	s_cbranch_execz .LBB0_9
; %bb.8:
	v_add_u32_e32 v0, 0x680, v142
	ds_read2_b64 v[62:65], v0 offset0:12 offset1:243
	v_add_u32_e32 v0, 0x1500, v142
	ds_read2_b64 v[16:19], v0 offset0:10 offset1:241
	ds_read_b64 v[94:95], v142 offset:9152
	s_waitcnt lgkmcnt(2)
	v_mov_b64_e32 v[86:87], v[62:63]
	s_waitcnt lgkmcnt(1)
	v_mov_b32_e32 v88, v17
	v_mov_b32_e32 v90, v19
	s_waitcnt lgkmcnt(0)
	v_mov_b32_e32 v92, v95
.LBB0_9:
	s_or_b64 exec, exec, s[6:7]
	s_mov_b64 s[6:7], 0xdc
	v_lshl_add_u64 v[102:103], v[124:125], 0, s[6:7]
	s_mov_b32 s6, 0xba2f
	v_mul_u32_u24_sdwa v0, v102, s6 dst_sel:DWORD dst_unused:UNUSED_PAD src0_sel:WORD_0 src1_sel:DWORD
	v_lshrrev_b32_e32 v0, 19, v0
	v_mul_lo_u16_e32 v0, 11, v0
	v_sub_u16_e32 v0, v102, v0
	v_lshlrev_b16_e32 v1, 2, v0
	v_lshlrev_b32_e32 v1, 3, v1
	s_movk_i32 s7, 0x75
	global_load_dwordx4 v[116:119], v1, s[0:1]
	global_load_dwordx4 v[112:115], v1, s[0:1] offset:16
	v_mul_lo_u16_sdwa v1, v124, s7 dst_sel:DWORD dst_unused:UNUSED_PAD src0_sel:BYTE_0 src1_sel:DWORD
	v_sub_u16_sdwa v3, v124, v1 dst_sel:DWORD dst_unused:UNUSED_PAD src0_sel:DWORD src1_sel:BYTE_1
	v_lshrrev_b16_e32 v3, 1, v3
	v_and_b32_e32 v3, 0x7f, v3
	v_add_u16_sdwa v1, v3, v1 dst_sel:DWORD dst_unused:UNUSED_PAD src0_sel:DWORD src1_sel:BYTE_1
	v_lshrrev_b16_e32 v1, 3, v1
	v_mul_lo_u16_e32 v3, 11, v1
	v_sub_u16_e32 v3, v124, v3
	v_and_b32_e32 v3, 0xff, v3
	v_lshlrev_b32_e32 v19, 5, v3
	global_load_dwordx4 v[32:35], v19, s[0:1] offset:16
	global_load_dwordx4 v[36:39], v19, s[0:1]
	s_mov_b64 s[18:19], 0x6e
	s_mov_b64 s[20:21], 0xa5
	v_mul_lo_u16_sdwa v2, v100, s7 dst_sel:DWORD dst_unused:UNUSED_PAD src0_sel:BYTE_0 src1_sel:DWORD
	v_lshl_add_u64 v[104:105], v[124:125], 0, s[18:19]
	v_lshl_add_u64 v[106:107], v[124:125], 0, s[20:21]
	v_sub_u16_sdwa v4, v100, v2 dst_sel:DWORD dst_unused:UNUSED_PAD src0_sel:DWORD src1_sel:BYTE_1
	v_mul_lo_u16_sdwa v5, v104, s7 dst_sel:DWORD dst_unused:UNUSED_PAD src0_sel:BYTE_0 src1_sel:DWORD
	v_mul_lo_u16_sdwa v6, v106, s7 dst_sel:DWORD dst_unused:UNUSED_PAD src0_sel:BYTE_0 src1_sel:DWORD
	v_lshrrev_b16_e32 v4, 1, v4
	v_sub_u16_sdwa v7, v104, v5 dst_sel:DWORD dst_unused:UNUSED_PAD src0_sel:DWORD src1_sel:BYTE_1
	v_sub_u16_sdwa v17, v106, v6 dst_sel:DWORD dst_unused:UNUSED_PAD src0_sel:DWORD src1_sel:BYTE_1
	v_and_b32_e32 v4, 0x7f, v4
	v_lshrrev_b16_e32 v7, 1, v7
	v_lshrrev_b16_e32 v17, 1, v17
	v_add_u16_sdwa v2, v4, v2 dst_sel:DWORD dst_unused:UNUSED_PAD src0_sel:DWORD src1_sel:BYTE_1
	v_and_b32_e32 v4, 0x7f, v7
	v_and_b32_e32 v7, 0x7f, v17
	v_lshrrev_b16_e32 v2, 3, v2
	v_add_u16_sdwa v4, v4, v5 dst_sel:DWORD dst_unused:UNUSED_PAD src0_sel:DWORD src1_sel:BYTE_1
	v_add_u16_sdwa v5, v7, v6 dst_sel:DWORD dst_unused:UNUSED_PAD src0_sel:DWORD src1_sel:BYTE_1
	v_mul_lo_u16_e32 v6, 11, v2
	v_sub_u16_e32 v6, v100, v6
	v_and_b32_e32 v6, 0xff, v6
	v_lshlrev_b32_e32 v19, 5, v6
	global_load_dwordx4 v[44:47], v19, s[0:1] offset:16
	global_load_dwordx4 v[56:59], v19, s[0:1]
	v_lshrrev_b16_e32 v4, 3, v4
	v_lshrrev_b16_e32 v5, 3, v5
	v_mul_lo_u16_e32 v7, 11, v4
	v_mul_lo_u16_e32 v17, 11, v5
	v_sub_u16_e32 v7, v104, v7
	v_sub_u16_e32 v17, v106, v17
	v_and_b32_e32 v7, 0xff, v7
	v_and_b32_e32 v101, 0xff, v17
	v_lshlrev_b32_e32 v17, 5, v7
	v_lshlrev_b32_e32 v19, 5, v101
	global_load_dwordx4 v[48:51], v17, s[0:1] offset:16
	global_load_dwordx4 v[60:63], v17, s[0:1]
	global_load_dwordx4 v[40:43], v19, s[0:1] offset:16
	global_load_dwordx4 v[52:55], v19, s[0:1]
	s_mov_b32 s6, 0x3f737871
	s_mov_b32 s12, 0x3f167918
	;; [unrolled: 1-line block ×3, first 2 shown]
	v_mul_u32_u24_e32 v1, 55, v1
	v_add_lshl_u32 v1, v1, v3, 3
	s_waitcnt lgkmcnt(0)
	; wave barrier
	s_waitcnt lgkmcnt(0)
	v_accvgpr_write_b32 a44, v1
	v_lshlrev_b32_e32 v0, 3, v0
	v_accvgpr_write_b32 a49, v0
	s_waitcnt vmcnt(9)
	v_pk_mul_f32 v[96:97], v[64:65], v[116:117] op_sel:[1,0]
	v_pk_mul_f32 v[98:99], v[88:89], v[118:119] op_sel_hi:[0,1]
	s_waitcnt vmcnt(8)
	v_pk_mul_f32 v[108:109], v[90:91], v[112:113] op_sel_hi:[0,1]
	v_pk_mul_f32 v[110:111], v[92:93], v[114:115] op_sel_hi:[0,1]
	v_pk_fma_f32 v[88:89], v[64:65], v[116:117], v[96:97] op_sel:[0,0,1] op_sel_hi:[1,1,0] neg_lo:[0,0,1] neg_hi:[0,0,1]
	v_pk_fma_f32 v[96:97], v[64:65], v[116:117], v[96:97] op_sel:[0,0,1] op_sel_hi:[0,1,0]
	v_pk_fma_f32 v[64:65], v[16:17], v[118:119], v[98:99] op_sel:[0,0,1] op_sel_hi:[1,1,0] neg_lo:[0,0,1] neg_hi:[0,0,1]
	v_pk_fma_f32 v[16:17], v[16:17], v[118:119], v[98:99] op_sel:[0,0,1] op_sel_hi:[0,1,0]
	v_pk_fma_f32 v[90:91], v[18:19], v[112:113], v[108:109] op_sel:[0,0,1] op_sel_hi:[1,1,0] neg_lo:[0,0,1] neg_hi:[0,0,1]
	v_pk_fma_f32 v[18:19], v[18:19], v[112:113], v[108:109] op_sel:[0,0,1] op_sel_hi:[0,1,0]
	v_pk_fma_f32 v[92:93], v[94:95], v[114:115], v[110:111] op_sel:[0,0,1] op_sel_hi:[1,1,0] neg_lo:[0,0,1] neg_hi:[0,0,1]
	v_pk_fma_f32 v[94:95], v[94:95], v[114:115], v[110:111] op_sel:[0,0,1] op_sel_hi:[0,1,0]
	v_mov_b32_e32 v89, v97
	v_mov_b32_e32 v65, v17
	;; [unrolled: 1-line block ×4, first 2 shown]
	v_pk_add_f32 v[94:95], v[88:89], v[92:93]
	v_pk_add_f32 v[96:97], v[64:65], v[88:89] neg_lo:[0,1] neg_hi:[0,1]
	v_pk_add_f32 v[110:111], v[90:91], v[92:93] neg_lo:[0,1] neg_hi:[0,1]
	v_accvgpr_write_b32 a28, v112
	v_pk_add_f32 v[18:19], v[64:65], v[90:91] neg_lo:[0,1] neg_hi:[0,1]
	v_pk_fma_f32 v[94:95], v[94:95], 0.5, v[86:87] op_sel_hi:[1,0,1] neg_lo:[1,0,0] neg_hi:[1,0,0]
	v_pk_add_f32 v[96:97], v[96:97], v[110:111]
	v_pk_add_f32 v[110:111], v[64:65], v[90:91]
	v_accvgpr_write_b32 a29, v113
	v_accvgpr_write_b32 a30, v114
	;; [unrolled: 1-line block ×3, first 2 shown]
	v_pk_add_f32 v[16:17], v[88:89], v[92:93] neg_lo:[0,1] neg_hi:[0,1]
	v_pk_fma_f32 v[98:99], v[18:19], s[6:7], v[94:95] op_sel:[1,0,0] op_sel_hi:[0,0,1] neg_lo:[1,0,0] neg_hi:[1,0,0]
	v_pk_fma_f32 v[94:95], v[18:19], s[6:7], v[94:95] op_sel:[1,0,0] op_sel_hi:[0,0,1]
	v_pk_fma_f32 v[110:111], v[110:111], 0.5, v[86:87] op_sel_hi:[1,0,1] neg_lo:[1,0,0] neg_hi:[1,0,0]
	v_pk_add_f32 v[112:113], v[88:89], v[64:65] neg_lo:[0,1] neg_hi:[0,1]
	v_pk_add_f32 v[114:115], v[92:93], v[90:91] neg_lo:[0,1] neg_hi:[0,1]
	v_pk_fma_f32 v[94:95], v[16:17], s[12:13], v[94:95] op_sel:[1,0,0] op_sel_hi:[0,0,1] neg_lo:[1,0,0] neg_hi:[1,0,0]
	v_pk_fma_f32 v[98:99], v[16:17], s[12:13], v[98:99] op_sel:[1,0,0] op_sel_hi:[0,0,1]
	v_pk_add_f32 v[112:113], v[112:113], v[114:115]
	v_pk_fma_f32 v[114:115], v[16:17], s[6:7], v[110:111] op_sel:[1,0,0] op_sel_hi:[0,0,1] neg_lo:[1,0,0] neg_hi:[1,0,0]
	v_pk_fma_f32 v[16:17], v[16:17], s[6:7], v[110:111] op_sel:[1,0,0] op_sel_hi:[0,0,1]
	v_pk_fma_f32 v[16:17], v[18:19], s[12:13], v[16:17] op_sel:[1,0,0] op_sel_hi:[0,0,1]
	v_pk_fma_f32 v[18:19], v[18:19], s[12:13], v[114:115] op_sel:[1,0,0] op_sel_hi:[0,0,1] neg_lo:[1,0,0] neg_hi:[1,0,0]
	v_mov_b32_e32 v110, v18
	v_mov_b32_e32 v111, v17
	;; [unrolled: 1-line block ×4, first 2 shown]
	v_pk_fma_f32 v[138:139], v[112:113], s[18:19], v[16:17] op_sel_hi:[1,0,1]
	v_pk_fma_f32 v[16:17], v[112:113], s[18:19], v[110:111] op_sel_hi:[1,0,1]
	v_mov_b32_e32 v95, v99
	v_mov_b32_e32 v108, v98
	v_accvgpr_write_b32 a37, v17
	v_pk_fma_f32 v[18:19], v[96:97], s[18:19], v[94:95] op_sel_hi:[1,0,1]
	s_waitcnt vmcnt(6)
	v_pk_mul_f32 v[94:95], v[82:83], v[36:37] op_sel:[0,1]
	v_accvgpr_write_b32 a36, v16
	v_pk_fma_f32 v[16:17], v[96:97], s[18:19], v[108:109] op_sel_hi:[1,0,1]
	v_pk_fma_f32 v[96:97], v[82:83], v[36:37], v[94:95] op_sel:[0,0,1] op_sel_hi:[1,1,0] neg_lo:[0,0,1] neg_hi:[0,0,1]
	v_pk_fma_f32 v[82:83], v[82:83], v[36:37], v[94:95] op_sel:[0,0,1] op_sel_hi:[1,0,0]
	v_accvgpr_write_b32 a32, v116
	v_mov_b32_e32 v82, v39
	v_mov_b32_e32 v97, v83
	v_pk_mul_f32 v[82:83], v[78:79], v[82:83] op_sel_hi:[1,0]
	v_accvgpr_write_b32 a33, v117
	v_pk_fma_f32 v[94:95], v[78:79], v[38:39], v[82:83] op_sel:[0,0,1] op_sel_hi:[1,1,0] neg_lo:[0,0,1] neg_hi:[0,0,1]
	v_pk_fma_f32 v[78:79], v[78:79], v[38:39], v[82:83] op_sel:[0,0,1] op_sel_hi:[1,0,0]
	v_accvgpr_write_b32 a34, v118
	v_mov_b32_e32 v95, v79
	v_pk_mul_f32 v[78:79], v[74:75], v[32:33] op_sel:[0,1]
	v_accvgpr_write_b32 a35, v119
	v_pk_fma_f32 v[82:83], v[74:75], v[32:33], v[78:79] op_sel:[0,0,1] op_sel_hi:[1,1,0] neg_lo:[0,0,1] neg_hi:[0,0,1]
	v_pk_fma_f32 v[74:75], v[74:75], v[32:33], v[78:79] op_sel:[0,0,1] op_sel_hi:[1,0,0]
	v_pk_add_f32 v[114:115], v[96:97], v[94:95] neg_lo:[0,1] neg_hi:[0,1]
	v_mov_b32_e32 v74, v35
	v_mov_b32_e32 v83, v75
	v_pk_mul_f32 v[74:75], v[70:71], v[74:75] op_sel_hi:[1,0]
	v_pk_add_f32 v[110:111], v[94:95], v[82:83] neg_lo:[0,1] neg_hi:[0,1]
	v_pk_fma_f32 v[78:79], v[70:71], v[34:35], v[74:75] op_sel:[0,0,1] op_sel_hi:[1,1,0] neg_lo:[0,0,1] neg_hi:[0,0,1]
	v_pk_fma_f32 v[70:71], v[70:71], v[34:35], v[74:75] op_sel:[0,0,1] op_sel_hi:[1,0,0]
	v_pk_add_f32 v[74:75], v[94:95], v[82:83]
	v_mov_b32_e32 v79, v71
	v_pk_add_f32 v[98:99], v[96:97], v[78:79] neg_lo:[0,1] neg_hi:[0,1]
	v_pk_fma_f32 v[74:75], v[74:75], 0.5, v[66:67] op_sel_hi:[1,0,1] neg_lo:[1,0,0] neg_hi:[1,0,0]
	v_pk_mul_f32 v[108:109], v[98:99], s[6:7] op_sel_hi:[1,0]
	v_pk_add_f32 v[116:117], v[78:79], v[82:83] neg_lo:[0,1] neg_hi:[0,1]
	v_pk_add_f32 v[70:71], v[66:67], v[96:97]
	v_pk_mul_f32 v[112:113], v[110:111], s[12:13] op_sel_hi:[1,0]
	v_pk_add_f32 v[114:115], v[114:115], v[116:117]
	v_pk_add_f32 v[116:117], v[74:75], v[108:109] op_sel:[0,1] op_sel_hi:[1,0]
	v_pk_add_f32 v[74:75], v[74:75], v[108:109] op_sel:[0,1] op_sel_hi:[1,0] neg_lo:[0,1] neg_hi:[0,1]
	v_pk_add_f32 v[70:71], v[70:71], v[94:95]
	v_pk_add_f32 v[74:75], v[74:75], v[112:113] op_sel:[0,1] op_sel_hi:[1,0] neg_lo:[0,1] neg_hi:[0,1]
	v_pk_add_f32 v[108:109], v[116:117], v[112:113] op_sel:[0,1] op_sel_hi:[1,0]
	v_pk_add_f32 v[70:71], v[70:71], v[82:83]
	v_mov_b32_e32 v112, v108
	v_mov_b32_e32 v113, v75
	v_pk_add_f32 v[70:71], v[70:71], v[78:79]
	v_pk_fma_f32 v[112:113], v[114:115], s[18:19], v[112:113] op_sel_hi:[1,0,1]
	ds_write2_b64 v1, v[70:71], v[112:113] offset1:11
	v_pk_add_f32 v[70:71], v[96:97], v[78:79]
	v_pk_add_f32 v[78:79], v[82:83], v[78:79] neg_lo:[0,1] neg_hi:[0,1]
	v_pk_fma_f32 v[66:67], v[70:71], 0.5, v[66:67] op_sel_hi:[1,0,1] neg_lo:[1,0,0] neg_hi:[1,0,0]
	v_pk_add_f32 v[70:71], v[94:95], v[96:97] neg_lo:[0,1] neg_hi:[0,1]
	v_pk_mul_f32 v[82:83], v[98:99], s[12:13] op_sel_hi:[1,0]
	v_pk_add_f32 v[70:71], v[70:71], v[78:79]
	v_pk_mul_f32 v[78:79], v[110:111], s[6:7] op_sel_hi:[1,0]
	v_mov_b32_e32 v75, v109
	v_pk_add_f32 v[94:95], v[66:67], v[78:79] op_sel:[0,1] op_sel_hi:[1,0] neg_lo:[0,1] neg_hi:[0,1]
	v_pk_add_f32 v[66:67], v[66:67], v[78:79] op_sel:[0,1] op_sel_hi:[1,0]
	v_pk_add_f32 v[78:79], v[94:95], v[82:83] op_sel:[0,1] op_sel_hi:[1,0]
	v_pk_add_f32 v[66:67], v[66:67], v[82:83] op_sel:[0,1] op_sel_hi:[1,0] neg_lo:[0,1] neg_hi:[0,1]
	v_mov_b32_e32 v82, v78
	v_mov_b32_e32 v83, v67
	;; [unrolled: 1-line block ×3, first 2 shown]
	v_pk_fma_f32 v[82:83], v[70:71], s[18:19], v[82:83] op_sel_hi:[1,0,1]
	v_pk_fma_f32 v[66:67], v[70:71], s[18:19], v[66:67] op_sel_hi:[1,0,1]
	ds_write2_b64 v1, v[82:83], v[66:67] offset0:22 offset1:33
	v_pk_fma_f32 v[66:67], v[114:115], s[18:19], v[74:75] op_sel_hi:[1,0,1]
	ds_write_b64 v1, v[66:67] offset:352
	s_waitcnt vmcnt(4)
	v_pk_mul_f32 v[66:67], v[84:85], v[56:57] op_sel:[0,1]
	v_mul_u32_u24_e32 v1, 55, v2
	v_pk_fma_f32 v[70:71], v[84:85], v[56:57], v[66:67] op_sel:[0,0,1] op_sel_hi:[1,1,0] neg_lo:[0,0,1] neg_hi:[0,0,1]
	v_pk_fma_f32 v[66:67], v[84:85], v[56:57], v[66:67] op_sel:[0,0,1] op_sel_hi:[1,0,0]
	v_add_lshl_u32 v1, v1, v6, 3
	v_mov_b32_e32 v66, v59
	v_mov_b32_e32 v71, v67
	v_pk_mul_f32 v[66:67], v[80:81], v[66:67] op_sel_hi:[1,0]
	v_accvgpr_write_b32 a45, v1
	v_pk_fma_f32 v[74:75], v[80:81], v[58:59], v[66:67] op_sel:[0,0,1] op_sel_hi:[1,1,0] neg_lo:[0,0,1] neg_hi:[0,0,1]
	v_pk_fma_f32 v[66:67], v[80:81], v[58:59], v[66:67] op_sel:[0,0,1] op_sel_hi:[1,0,0]
	v_accvgpr_write_b32 a41, v19
	v_mov_b32_e32 v75, v67
	v_pk_mul_f32 v[66:67], v[76:77], v[44:45] op_sel:[0,1]
	v_pk_add_f32 v[96:97], v[70:71], v[74:75] neg_lo:[0,1] neg_hi:[0,1]
	v_pk_fma_f32 v[78:79], v[76:77], v[44:45], v[66:67] op_sel:[0,0,1] op_sel_hi:[1,1,0] neg_lo:[0,0,1] neg_hi:[0,0,1]
	v_pk_fma_f32 v[66:67], v[76:77], v[44:45], v[66:67] op_sel:[0,0,1] op_sel_hi:[1,0,0]
	v_accvgpr_write_b32 a40, v18
	v_mov_b32_e32 v66, v47
	v_mov_b32_e32 v79, v67
	v_pk_mul_f32 v[66:67], v[72:73], v[66:67] op_sel_hi:[1,0]
	v_pk_add_f32 v[84:85], v[74:75], v[78:79] neg_lo:[0,1] neg_hi:[0,1]
	v_pk_fma_f32 v[76:77], v[72:73], v[46:47], v[66:67] op_sel:[0,0,1] op_sel_hi:[1,1,0] neg_lo:[0,0,1] neg_hi:[0,0,1]
	v_pk_fma_f32 v[66:67], v[72:73], v[46:47], v[66:67] op_sel:[0,0,1] op_sel_hi:[1,0,0]
	v_pk_add_f32 v[72:73], v[74:75], v[78:79]
	v_mov_b32_e32 v77, v67
	v_pk_add_f32 v[80:81], v[70:71], v[76:77] neg_lo:[0,1] neg_hi:[0,1]
	v_pk_fma_f32 v[72:73], v[72:73], 0.5, v[68:69] op_sel_hi:[1,0,1] neg_lo:[1,0,0] neg_hi:[1,0,0]
	v_pk_mul_f32 v[82:83], v[80:81], s[6:7] op_sel_hi:[1,0]
	v_pk_add_f32 v[98:99], v[76:77], v[78:79] neg_lo:[0,1] neg_hi:[0,1]
	v_pk_add_f32 v[66:67], v[68:69], v[70:71]
	v_pk_mul_f32 v[94:95], v[84:85], s[12:13] op_sel_hi:[1,0]
	v_pk_add_f32 v[96:97], v[96:97], v[98:99]
	v_pk_add_f32 v[98:99], v[72:73], v[82:83] op_sel:[0,1] op_sel_hi:[1,0]
	v_pk_add_f32 v[72:73], v[72:73], v[82:83] op_sel:[0,1] op_sel_hi:[1,0] neg_lo:[0,1] neg_hi:[0,1]
	v_pk_add_f32 v[66:67], v[66:67], v[74:75]
	v_pk_add_f32 v[72:73], v[72:73], v[94:95] op_sel:[0,1] op_sel_hi:[1,0] neg_lo:[0,1] neg_hi:[0,1]
	v_pk_add_f32 v[82:83], v[98:99], v[94:95] op_sel:[0,1] op_sel_hi:[1,0]
	v_pk_add_f32 v[66:67], v[66:67], v[78:79]
	v_mov_b32_e32 v94, v82
	v_mov_b32_e32 v95, v73
	v_pk_add_f32 v[66:67], v[66:67], v[76:77]
	v_pk_fma_f32 v[94:95], v[96:97], s[18:19], v[94:95] op_sel_hi:[1,0,1]
	ds_write2_b64 v1, v[66:67], v[94:95] offset1:11
	v_pk_add_f32 v[66:67], v[70:71], v[76:77]
	v_mov_b32_e32 v73, v83
	v_pk_fma_f32 v[66:67], v[66:67], 0.5, v[68:69] op_sel_hi:[1,0,1] neg_lo:[1,0,0] neg_hi:[1,0,0]
	v_pk_add_f32 v[68:69], v[74:75], v[70:71] neg_lo:[0,1] neg_hi:[0,1]
	v_pk_add_f32 v[70:71], v[78:79], v[76:77] neg_lo:[0,1] neg_hi:[0,1]
	v_pk_mul_f32 v[74:75], v[80:81], s[12:13] op_sel_hi:[1,0]
	v_pk_add_f32 v[68:69], v[68:69], v[70:71]
	v_pk_mul_f32 v[70:71], v[84:85], s[6:7] op_sel_hi:[1,0]
	v_accvgpr_write_b32 a39, v17
	v_pk_add_f32 v[76:77], v[66:67], v[70:71] op_sel:[0,1] op_sel_hi:[1,0] neg_lo:[0,1] neg_hi:[0,1]
	v_pk_add_f32 v[66:67], v[66:67], v[70:71] op_sel:[0,1] op_sel_hi:[1,0]
	v_pk_add_f32 v[70:71], v[76:77], v[74:75] op_sel:[0,1] op_sel_hi:[1,0]
	v_pk_add_f32 v[66:67], v[66:67], v[74:75] op_sel:[0,1] op_sel_hi:[1,0] neg_lo:[0,1] neg_hi:[0,1]
	v_mov_b32_e32 v74, v70
	v_mov_b32_e32 v75, v67
	;; [unrolled: 1-line block ×3, first 2 shown]
	v_pk_fma_f32 v[74:75], v[68:69], s[18:19], v[74:75] op_sel_hi:[1,0,1]
	v_pk_fma_f32 v[66:67], v[68:69], s[18:19], v[66:67] op_sel_hi:[1,0,1]
	ds_write2_b64 v1, v[74:75], v[66:67] offset0:22 offset1:33
	v_pk_fma_f32 v[66:67], v[96:97], s[18:19], v[72:73] op_sel_hi:[1,0,1]
	ds_write_b64 v1, v[66:67] offset:352
	s_waitcnt vmcnt(2)
	v_pk_mul_f32 v[66:67], v[28:29], v[60:61] op_sel:[0,1]
	v_mul_u32_u24_e32 v1, 55, v4
	v_pk_fma_f32 v[68:69], v[28:29], v[60:61], v[66:67] op_sel:[0,0,1] op_sel_hi:[1,1,0] neg_lo:[0,0,1] neg_hi:[0,0,1]
	v_pk_fma_f32 v[28:29], v[28:29], v[60:61], v[66:67] op_sel:[0,0,1] op_sel_hi:[1,0,0]
	v_add_lshl_u32 v1, v1, v7, 3
	v_mov_b32_e32 v28, v63
	v_mov_b32_e32 v69, v29
	v_pk_mul_f32 v[28:29], v[24:25], v[28:29] op_sel_hi:[1,0]
	v_accvgpr_write_b32 a48, v1
	v_pk_fma_f32 v[66:67], v[24:25], v[62:63], v[28:29] op_sel:[0,0,1] op_sel_hi:[1,1,0] neg_lo:[0,0,1] neg_hi:[0,0,1]
	v_pk_fma_f32 v[24:25], v[24:25], v[62:63], v[28:29] op_sel:[0,0,1] op_sel_hi:[1,0,0]
	v_accvgpr_write_b32 a38, v16
	v_mov_b32_e32 v67, v25
	v_pk_mul_f32 v[24:25], v[20:21], v[48:49] op_sel:[0,1]
	v_pk_add_f32 v[78:79], v[68:69], v[66:67] neg_lo:[0,1] neg_hi:[0,1]
	v_pk_fma_f32 v[28:29], v[20:21], v[48:49], v[24:25] op_sel:[0,0,1] op_sel_hi:[1,1,0] neg_lo:[0,0,1] neg_hi:[0,0,1]
	v_pk_fma_f32 v[20:21], v[20:21], v[48:49], v[24:25] op_sel:[0,0,1] op_sel_hi:[1,0,0]
	s_nop 0
	v_mov_b32_e32 v20, v51
	v_mov_b32_e32 v29, v21
	v_pk_mul_f32 v[20:21], v[12:13], v[20:21] op_sel_hi:[1,0]
	v_pk_add_f32 v[74:75], v[66:67], v[28:29] neg_lo:[0,1] neg_hi:[0,1]
	v_pk_fma_f32 v[24:25], v[12:13], v[50:51], v[20:21] op_sel:[0,0,1] op_sel_hi:[1,1,0] neg_lo:[0,0,1] neg_hi:[0,0,1]
	v_pk_fma_f32 v[12:13], v[12:13], v[50:51], v[20:21] op_sel:[0,0,1] op_sel_hi:[1,0,0]
	v_pk_add_f32 v[20:21], v[66:67], v[28:29]
	v_mov_b32_e32 v25, v13
	v_pk_add_f32 v[70:71], v[68:69], v[24:25] neg_lo:[0,1] neg_hi:[0,1]
	v_pk_fma_f32 v[20:21], v[20:21], 0.5, v[8:9] op_sel_hi:[1,0,1] neg_lo:[1,0,0] neg_hi:[1,0,0]
	v_pk_mul_f32 v[72:73], v[70:71], s[6:7] op_sel_hi:[1,0]
	v_pk_add_f32 v[80:81], v[24:25], v[28:29] neg_lo:[0,1] neg_hi:[0,1]
	v_pk_add_f32 v[12:13], v[8:9], v[68:69]
	v_pk_mul_f32 v[76:77], v[74:75], s[12:13] op_sel_hi:[1,0]
	v_pk_add_f32 v[78:79], v[78:79], v[80:81]
	v_pk_add_f32 v[80:81], v[20:21], v[72:73] op_sel:[0,1] op_sel_hi:[1,0]
	v_pk_add_f32 v[20:21], v[20:21], v[72:73] op_sel:[0,1] op_sel_hi:[1,0] neg_lo:[0,1] neg_hi:[0,1]
	v_pk_add_f32 v[12:13], v[12:13], v[66:67]
	v_pk_add_f32 v[20:21], v[20:21], v[76:77] op_sel:[0,1] op_sel_hi:[1,0] neg_lo:[0,1] neg_hi:[0,1]
	v_pk_add_f32 v[72:73], v[80:81], v[76:77] op_sel:[0,1] op_sel_hi:[1,0]
	v_pk_add_f32 v[12:13], v[12:13], v[28:29]
	v_mov_b32_e32 v76, v72
	v_mov_b32_e32 v77, v21
	v_pk_add_f32 v[12:13], v[12:13], v[24:25]
	v_pk_fma_f32 v[76:77], v[78:79], s[18:19], v[76:77] op_sel_hi:[1,0,1]
	ds_write2_b64 v1, v[12:13], v[76:77] offset1:11
	v_pk_add_f32 v[12:13], v[68:69], v[24:25]
	v_pk_add_f32 v[24:25], v[28:29], v[24:25] neg_lo:[0,1] neg_hi:[0,1]
	v_pk_fma_f32 v[8:9], v[12:13], 0.5, v[8:9] op_sel_hi:[1,0,1] neg_lo:[1,0,0] neg_hi:[1,0,0]
	v_pk_add_f32 v[12:13], v[66:67], v[68:69] neg_lo:[0,1] neg_hi:[0,1]
	v_pk_mul_f32 v[28:29], v[70:71], s[12:13] op_sel_hi:[1,0]
	v_pk_add_f32 v[12:13], v[12:13], v[24:25]
	v_pk_mul_f32 v[24:25], v[74:75], s[6:7] op_sel_hi:[1,0]
	v_mov_b32_e32 v21, v73
	v_pk_add_f32 v[66:67], v[8:9], v[24:25] op_sel:[0,1] op_sel_hi:[1,0] neg_lo:[0,1] neg_hi:[0,1]
	v_pk_add_f32 v[8:9], v[8:9], v[24:25] op_sel:[0,1] op_sel_hi:[1,0]
	v_pk_add_f32 v[24:25], v[66:67], v[28:29] op_sel:[0,1] op_sel_hi:[1,0]
	v_pk_add_f32 v[8:9], v[8:9], v[28:29] op_sel:[0,1] op_sel_hi:[1,0] neg_lo:[0,1] neg_hi:[0,1]
	v_mov_b32_e32 v28, v24
	v_mov_b32_e32 v29, v9
	;; [unrolled: 1-line block ×3, first 2 shown]
	v_pk_fma_f32 v[28:29], v[12:13], s[18:19], v[28:29] op_sel_hi:[1,0,1]
	v_pk_fma_f32 v[8:9], v[12:13], s[18:19], v[8:9] op_sel_hi:[1,0,1]
	ds_write2_b64 v1, v[28:29], v[8:9] offset0:22 offset1:33
	v_pk_fma_f32 v[8:9], v[78:79], s[18:19], v[20:21] op_sel_hi:[1,0,1]
	ds_write_b64 v1, v[8:9] offset:352
	s_waitcnt vmcnt(0)
	v_pk_mul_f32 v[8:9], v[30:31], v[52:53] op_sel:[0,1]
	v_mul_u32_u24_e32 v1, 55, v5
	v_pk_fma_f32 v[12:13], v[30:31], v[52:53], v[8:9] op_sel:[0,0,1] op_sel_hi:[1,1,0] neg_lo:[0,0,1] neg_hi:[0,0,1]
	v_pk_fma_f32 v[8:9], v[30:31], v[52:53], v[8:9] op_sel:[0,0,1] op_sel_hi:[1,0,0]
	v_add_lshl_u32 v1, v1, v101, 3
	v_mov_b32_e32 v8, v55
	v_mov_b32_e32 v13, v9
	v_pk_mul_f32 v[8:9], v[26:27], v[8:9] op_sel_hi:[1,0]
	v_accvgpr_write_b32 a50, v1
	v_pk_fma_f32 v[20:21], v[26:27], v[54:55], v[8:9] op_sel:[0,0,1] op_sel_hi:[1,1,0] neg_lo:[0,0,1] neg_hi:[0,0,1]
	v_pk_fma_f32 v[8:9], v[26:27], v[54:55], v[8:9] op_sel:[0,0,1] op_sel_hi:[1,0,0]
	s_nop 0
	v_mov_b32_e32 v21, v9
	v_pk_mul_f32 v[8:9], v[22:23], v[40:41] op_sel:[0,1]
	v_pk_add_f32 v[68:69], v[12:13], v[20:21] neg_lo:[0,1] neg_hi:[0,1]
	v_pk_fma_f32 v[24:25], v[22:23], v[40:41], v[8:9] op_sel:[0,0,1] op_sel_hi:[1,1,0] neg_lo:[0,0,1] neg_hi:[0,0,1]
	v_pk_fma_f32 v[8:9], v[22:23], v[40:41], v[8:9] op_sel:[0,0,1] op_sel_hi:[1,0,0]
	s_nop 0
	v_mov_b32_e32 v8, v43
	v_mov_b32_e32 v25, v9
	v_pk_mul_f32 v[8:9], v[14:15], v[8:9] op_sel_hi:[1,0]
	v_pk_add_f32 v[30:31], v[20:21], v[24:25] neg_lo:[0,1] neg_hi:[0,1]
	v_pk_fma_f32 v[22:23], v[14:15], v[42:43], v[8:9] op_sel:[0,0,1] op_sel_hi:[1,1,0] neg_lo:[0,0,1] neg_hi:[0,0,1]
	v_pk_fma_f32 v[8:9], v[14:15], v[42:43], v[8:9] op_sel:[0,0,1] op_sel_hi:[1,0,0]
	v_pk_add_f32 v[14:15], v[20:21], v[24:25]
	v_mov_b32_e32 v23, v9
	v_pk_add_f32 v[26:27], v[12:13], v[22:23] neg_lo:[0,1] neg_hi:[0,1]
	v_pk_fma_f32 v[14:15], v[14:15], 0.5, v[10:11] op_sel_hi:[1,0,1] neg_lo:[1,0,0] neg_hi:[1,0,0]
	v_pk_mul_f32 v[28:29], v[26:27], s[6:7] op_sel_hi:[1,0]
	v_pk_add_f32 v[70:71], v[22:23], v[24:25] neg_lo:[0,1] neg_hi:[0,1]
	v_pk_add_f32 v[8:9], v[10:11], v[12:13]
	v_pk_mul_f32 v[66:67], v[30:31], s[12:13] op_sel_hi:[1,0]
	v_pk_add_f32 v[68:69], v[68:69], v[70:71]
	v_pk_add_f32 v[70:71], v[14:15], v[28:29] op_sel:[0,1] op_sel_hi:[1,0]
	v_pk_add_f32 v[14:15], v[14:15], v[28:29] op_sel:[0,1] op_sel_hi:[1,0] neg_lo:[0,1] neg_hi:[0,1]
	v_pk_add_f32 v[8:9], v[8:9], v[20:21]
	v_pk_add_f32 v[14:15], v[14:15], v[66:67] op_sel:[0,1] op_sel_hi:[1,0] neg_lo:[0,1] neg_hi:[0,1]
	v_pk_add_f32 v[28:29], v[70:71], v[66:67] op_sel:[0,1] op_sel_hi:[1,0]
	v_pk_add_f32 v[8:9], v[8:9], v[24:25]
	v_mov_b32_e32 v66, v28
	v_mov_b32_e32 v67, v15
	v_pk_add_f32 v[8:9], v[8:9], v[22:23]
	v_pk_fma_f32 v[66:67], v[68:69], s[18:19], v[66:67] op_sel_hi:[1,0,1]
	ds_write2_b64 v1, v[8:9], v[66:67] offset1:11
	v_pk_add_f32 v[8:9], v[12:13], v[22:23]
	v_mov_b32_e32 v15, v29
	v_pk_fma_f32 v[8:9], v[8:9], 0.5, v[10:11] op_sel_hi:[1,0,1] neg_lo:[1,0,0] neg_hi:[1,0,0]
	v_pk_add_f32 v[10:11], v[20:21], v[12:13] neg_lo:[0,1] neg_hi:[0,1]
	v_pk_add_f32 v[12:13], v[24:25], v[22:23] neg_lo:[0,1] neg_hi:[0,1]
	v_pk_mul_f32 v[20:21], v[26:27], s[12:13] op_sel_hi:[1,0]
	v_pk_add_f32 v[10:11], v[10:11], v[12:13]
	v_pk_mul_f32 v[12:13], v[30:31], s[6:7] op_sel_hi:[1,0]
	s_nop 0
	v_pk_add_f32 v[22:23], v[8:9], v[12:13] op_sel:[0,1] op_sel_hi:[1,0] neg_lo:[0,1] neg_hi:[0,1]
	v_pk_add_f32 v[8:9], v[8:9], v[12:13] op_sel:[0,1] op_sel_hi:[1,0]
	v_pk_add_f32 v[12:13], v[22:23], v[20:21] op_sel:[0,1] op_sel_hi:[1,0]
	v_pk_add_f32 v[8:9], v[8:9], v[20:21] op_sel:[0,1] op_sel_hi:[1,0] neg_lo:[0,1] neg_hi:[0,1]
	v_mov_b32_e32 v20, v12
	v_mov_b32_e32 v21, v9
	;; [unrolled: 1-line block ×3, first 2 shown]
	v_pk_fma_f32 v[20:21], v[10:11], s[18:19], v[20:21] op_sel_hi:[1,0,1]
	v_pk_fma_f32 v[8:9], v[10:11], s[18:19], v[8:9] op_sel_hi:[1,0,1]
	ds_write2_b64 v1, v[20:21], v[8:9] offset0:22 offset1:33
	v_pk_fma_f32 v[8:9], v[68:69], s[18:19], v[14:15] op_sel_hi:[1,0,1]
	ds_write_b64 v1, v[8:9] offset:352
	s_and_saveexec_b64 s[6:7], s[2:3]
	s_cbranch_execz .LBB0_11
; %bb.10:
	v_pk_add_f32 v[8:9], v[86:87], v[88:89]
	v_accvgpr_read_b32 v6, a49
	v_pk_add_f32 v[8:9], v[8:9], v[64:65]
	v_accvgpr_read_b32 v2, a38
	v_pk_add_f32 v[8:9], v[8:9], v[90:91]
	v_add_u32_e32 v0, 0x2000, v6
	v_pk_add_f32 v[8:9], v[8:9], v[92:93]
	v_accvgpr_read_b32 v3, a39
	v_accvgpr_read_b32 v4, a40
	;; [unrolled: 1-line block ×3, first 2 shown]
	ds_write2_b64 v0, v[8:9], v[138:139] offset0:76 offset1:87
	ds_write2_b64 v0, v[2:3], v[4:5] offset0:98 offset1:109
	ds_write_b64 v6, a[36:37] offset:9152
.LBB0_11:
	s_or_b64 exec, exec, s[6:7]
	v_mad_u64_u32 v[108:109], s[6:7], v124, 48, s[0:1]
	s_movk_i32 s6, 0x95
	s_nop 0
	v_mul_lo_u16_sdwa v0, v104, s6 dst_sel:DWORD dst_unused:UNUSED_PAD src0_sel:BYTE_0 src1_sel:DWORD
	v_lshrrev_b16_e32 v0, 13, v0
	v_mul_lo_u16_e32 v0, 55, v0
	s_waitcnt lgkmcnt(0)
	; wave barrier
	s_waitcnt lgkmcnt(0)
	global_load_dwordx4 v[20:23], v[108:109], off offset:368
	global_load_dwordx4 v[28:31], v[108:109], off offset:352
	;; [unrolled: 1-line block ×3, first 2 shown]
	v_sub_u16_e32 v0, v104, v0
	v_and_b32_e32 v0, 0xff, v0
	v_mad_u64_u32 v[68:69], s[6:7], v0, 48, s[0:1]
	global_load_dwordx4 v[64:67], v[68:69], off offset:368
	global_load_dwordx4 v[12:15], v[68:69], off offset:352
	global_load_dwordx4 v[8:11], v[68:69], off offset:384
	ds_read2_b64 v[84:87], v142 offset0:110 offset1:165
	v_add_u32_e32 v128, 0x800, v142
	ds_read2_b64 v[68:71], v142 offset1:55
	ds_read2_b64 v[96:99], v128 offset0:74 offset1:129
	v_add_u32_e32 v126, 0x1000, v142
	v_add_u32_e32 v134, 0x1800, v142
	;; [unrolled: 1-line block ×4, first 2 shown]
	ds_read2_b64 v[130:133], v128 offset0:184 offset1:239
	ds_read2_b64 v[72:75], v126 offset0:148 offset1:203
	;; [unrolled: 1-line block ×7, first 2 shown]
	v_mov_b32_e32 v6, v124
	s_waitcnt lgkmcnt(9)
	v_mov_b32_e32 v140, v87
	s_waitcnt lgkmcnt(6)
	v_mov_b32_e32 v141, v132
	v_mov_b32_e32 v182, v133
	;; [unrolled: 1-line block ×7, first 2 shown]
	s_waitcnt lgkmcnt(5)
	v_mov_b32_e32 v184, v72
	s_waitcnt lgkmcnt(3)
	v_mov_b32_e32 v208, v76
	v_mov_b32_e32 v209, v73
	;; [unrolled: 1-line block ×3, first 2 shown]
	s_mov_b32 s22, 0x3d64c772
	s_mov_b32 s26, 0x3eae86e6
	;; [unrolled: 1-line block ×12, first 2 shown]
	s_waitcnt vmcnt(5)
	v_mov_b32_e32 v121, v21
	s_waitcnt vmcnt(4)
	v_mov_b32_e32 v120, v29
	v_mov_b32_e32 v124, v21
	;; [unrolled: 1-line block ×6, first 2 shown]
	v_pk_mul_f32 v[140:141], v[140:141], v[120:121]
	v_mov_b32_e32 v122, v20
	v_pk_mul_f32 v[182:183], v[182:183], v[124:125]
	v_pk_fma_f32 v[196:197], v[136:137], v[16:17], v[140:141] neg_lo:[0,0,1] neg_hi:[0,0,1]
	v_pk_fma_f32 v[136:137], v[136:137], v[16:17], v[140:141]
	v_pk_fma_f32 v[140:141], v[176:177], v[122:123], v[182:183]
	v_mov_b32_e32 v176, v73
	v_mov_b32_e32 v177, v180
	;; [unrolled: 1-line block ×3, first 2 shown]
	s_waitcnt vmcnt(3)
	v_mov_b32_e32 v205, v25
	v_mul_f32_e32 v2, v181, v25
	v_mul_f32_e32 v188, v76, v27
	v_pk_mul_f32 v[176:177], v[176:177], v[204:205]
	v_mul_f32_e32 v3, v99, v31
	v_fma_f32 v191, v180, v24, -v2
	v_fmac_f32_e32 v188, v77, v26
	s_waitcnt vmcnt(0) lgkmcnt(0)
	v_mul_f32_e32 v2, v83, v9
	v_pk_fma_f32 v[206:207], v[72:73], v[22:23], v[176:177] neg_lo:[0,0,1] neg_hi:[0,0,1]
	v_mov_b32_e32 v76, v77
	v_mov_b32_e32 v77, v72
	;; [unrolled: 1-line block ×6, first 2 shown]
	v_fma_f32 v115, v98, v30, -v3
	v_fma_f32 v198, v82, v8, -v2
	v_mov_b32_e32 v2, v26
	v_mov_b32_e32 v3, v22
	v_pk_mul_f32 v[76:77], v[76:77], v[72:73]
	v_mul_f32_e32 v186, v86, v29
	v_mul_f32_e32 v1, v97, v31
	v_pk_fma_f32 v[132:133], v[132:133], v[20:21], v[182:183] neg_lo:[0,0,1] neg_hi:[0,0,1]
	v_pk_fma_f32 v[184:185], v[184:185], v[118:119], v[176:177]
	v_pk_fma_f32 v[210:211], v[208:209], v[2:3], v[76:77] neg_lo:[0,0,1] neg_hi:[0,0,1]
	v_pk_fma_f32 v[76:77], v[208:209], v[2:3], v[76:77]
	v_fmac_f32_e32 v186, v87, v28
	v_fma_f32 v181, v96, v30, -v1
	v_mov_b32_e32 v197, v137
	v_mov_b32_e32 v211, v77
	;; [unrolled: 1-line block ×10, first 2 shown]
	v_add_f32_e32 v193, v186, v188
	v_mov_b32_e32 v133, v141
	v_mov_b32_e32 v207, v185
	v_pk_add_f32 v[186:187], v[186:187], v[188:189] neg_lo:[0,1] neg_hi:[0,1]
	v_pk_add_f32 v[140:141], v[180:181], v[190:191] neg_lo:[0,1] neg_hi:[0,1]
	;; [unrolled: 1-line block ×3, first 2 shown]
	v_add_f32_e32 v194, v181, v191
	v_pk_add_f32 v[180:181], v[132:133], v[206:207]
	v_pk_add_f32 v[184:185], v[196:197], v[210:211]
	v_mov_b32_e32 v206, v76
	v_mov_b32_e32 v207, v187
	;; [unrolled: 1-line block ×6, first 2 shown]
	v_pk_add_f32 v[196:197], v[76:77], v[140:141]
	v_pk_add_f32 v[206:207], v[206:207], v[208:209] neg_lo:[0,1] neg_hi:[0,1]
	v_mov_b32_e32 v208, v186
	v_mov_b32_e32 v77, v141
	v_add_f32_e32 v132, v194, v184
	v_add_f32_e32 v137, v181, v193
	v_pk_add_f32 v[188:189], v[192:193], v[194:195] neg_lo:[0,1] neg_hi:[0,1]
	v_pk_add_f32 v[190:191], v[184:185], v[180:181] neg_lo:[0,1] neg_hi:[0,1]
	;; [unrolled: 1-line block ×3, first 2 shown]
	v_mov_b32_e32 v133, v185
	v_mov_b32_e32 v136, v180
	v_pk_add_f32 v[132:133], v[132:133], v[136:137]
	v_pk_add_f32 v[136:137], v[196:197], v[186:187]
	v_pk_mul_f32 v[188:189], v[188:189], s[22:23]
	v_pk_mul_f32 v[196:197], v[190:191], s[24:25]
	;; [unrolled: 1-line block ×4, first 2 shown]
	v_mov_b32_e32 v195, v181
	v_mov_b32_e32 v185, v193
	v_pk_add_f32 v[68:69], v[68:69], v[132:133]
	v_pk_add_f32 v[180:181], v[194:195], v[184:185] neg_lo:[0,1] neg_hi:[0,1]
	v_pk_add_f32 v[140:141], v[140:141], v[186:187] neg_lo:[0,1] neg_hi:[0,1]
	v_mov_b32_e32 v184, v196
	v_mov_b32_e32 v185, v189
	;; [unrolled: 1-line block ×4, first 2 shown]
	v_pk_fma_f32 v[132:133], v[132:133], s[20:21], v[68:69] op_sel_hi:[1,0,1] neg_lo:[1,0,0] neg_hi:[1,0,0]
	v_pk_fma_f32 v[190:191], v[190:191], s[24:25], v[188:189]
	v_pk_fma_f32 v[76:77], v[76:77], s[26:27], v[206:207]
	v_pk_fma_f32 v[184:185], v[180:181], s[18:19], v[184:185] op_sel_hi:[1,0,1] neg_lo:[1,0,1] neg_hi:[1,0,1]
	v_pk_fma_f32 v[186:187], v[140:141], s[12:13], v[186:187] op_sel_hi:[1,0,1] neg_lo:[1,0,1] neg_hi:[1,0,1]
	v_pk_add_f32 v[190:191], v[190:191], v[132:133]
	v_pk_fma_f32 v[76:77], v[136:137], s[6:7], v[76:77] op_sel_hi:[1,0,1]
	v_pk_add_f32 v[184:185], v[184:185], v[132:133]
	v_pk_fma_f32 v[186:187], v[136:137], s[6:7], v[186:187] op_sel_hi:[1,0,1]
	v_mov_b32_e32 v189, v197
	v_pk_add_f32 v[210:211], v[190:191], v[76:77]
	v_pk_add_f32 v[76:77], v[190:191], v[76:77] neg_lo:[0,1] neg_hi:[0,1]
	v_pk_add_f32 v[190:191], v[184:185], v[186:187]
	v_pk_add_f32 v[184:185], v[184:185], v[186:187] neg_lo:[0,1] neg_hi:[0,1]
	v_pk_fma_f32 v[180:181], v[180:181], s[18:19], v[188:189] op_sel_hi:[1,0,1] neg_lo:[0,0,1] neg_hi:[0,0,1]
	v_pk_mul_f32 v[186:187], v[90:91], v[12:13] op_sel_hi:[1,0]
	v_mul_f32_e32 v201, v179, v66
	v_mul_f32_e32 v203, v178, v67
	;; [unrolled: 1-line block ×3, first 2 shown]
	v_pk_add_f32 v[132:133], v[180:181], v[132:133]
	ds_read_b64 v[180:181], v142 offset:8800
	v_pk_fma_f32 v[188:189], v[90:91], v[12:13], v[186:187] op_sel:[0,1,1] op_sel_hi:[1,1,0]
	v_pk_fma_f32 v[90:91], v[90:91], v[12:13], v[186:187] op_sel:[0,1,1] op_sel_hi:[1,1,0] neg_lo:[1,0,0] neg_hi:[1,0,0]
	v_mov_b32_e32 v186, v131
	v_mov_b32_e32 v187, v178
	;; [unrolled: 1-line block ×5, first 2 shown]
	v_fma_f32 v182, v130, v14, -v1
	v_mov_b32_e32 v192, v14
	v_mov_b32_e32 v193, v66
	v_pk_mul_f32 v[130:131], v[130:131], v[178:179]
	v_mul_f32_e32 v183, v95, v64
	v_mul_f32_e32 v199, v94, v65
	v_pk_fma_f32 v[178:179], v[186:187], v[14:15], v[130:131]
	v_pk_fma_f32 v[130:131], v[186:187], v[192:193], v[130:131] neg_lo:[0,0,1] neg_hi:[0,0,1]
	v_mov_b32_e32 v186, v83
	v_mov_b32_e32 v187, v94
	;; [unrolled: 1-line block ×7, first 2 shown]
	v_pk_mul_f32 v[82:83], v[82:83], v[94:95]
	v_mov_b32_e32 v207, v209
	v_pk_fma_f32 v[94:95], v[186:187], v[8:9], v[82:83]
	v_pk_fma_f32 v[82:83], v[186:187], v[192:193], v[82:83] neg_lo:[0,0,1] neg_hi:[0,0,1]
	s_waitcnt lgkmcnt(0)
	v_pk_mul_f32 v[186:187], v[180:181], v[10:11] op_sel_hi:[1,0]
	v_mov_b32_e32 v82, v11
	v_pk_fma_f32 v[140:141], v[140:141], s[12:13], v[206:207] op_sel_hi:[1,0,1] neg_lo:[0,0,1] neg_hi:[0,0,1]
	v_pk_fma_f32 v[192:193], v[180:181], v[82:83], v[186:187] op_sel:[0,0,1] op_sel_hi:[1,0,0]
	v_pk_fma_f32 v[180:181], v[180:181], v[82:83], v[186:187] op_sel:[0,0,1] op_sel_hi:[1,0,0] neg_lo:[1,0,0] neg_hi:[1,0,0]
	v_pk_fma_f32 v[136:137], v[136:137], s[6:7], v[140:141] op_sel_hi:[1,0,1]
	v_mov_b32_e32 v189, v91
	v_mov_b32_e32 v179, v131
	;; [unrolled: 1-line block ×6, first 2 shown]
	v_pk_add_f32 v[140:141], v[132:133], v[136:137] neg_lo:[0,1] neg_hi:[0,1]
	v_pk_add_f32 v[132:133], v[132:133], v[136:137]
	v_pk_add_f32 v[136:137], v[182:183], v[198:199]
	;; [unrolled: 1-line block ×3, first 2 shown]
	v_pk_add_f32 v[188:189], v[188:189], v[192:193] neg_lo:[0,1] neg_hi:[0,1]
	v_pk_add_f32 v[192:193], v[178:179], v[94:95]
	v_pk_add_f32 v[90:91], v[200:201], v[202:203]
	v_pk_add_f32 v[94:95], v[178:179], v[94:95] neg_lo:[0,1] neg_hi:[0,1]
	v_mov_b32_e32 v178, v91
	v_mov_b32_e32 v179, v182
	;; [unrolled: 1-line block ×8, first 2 shown]
	v_pk_add_f32 v[178:179], v[178:179], v[180:181] neg_lo:[0,1] neg_hi:[0,1]
	v_pk_add_f32 v[198:199], v[136:137], v[90:91]
	v_pk_add_f32 v[82:83], v[82:83], v[130:131]
	v_mov_b32_e32 v194, v178
	v_mov_b32_e32 v195, v189
	;; [unrolled: 1-line block ×6, first 2 shown]
	v_pk_add_f32 v[194:195], v[194:195], v[94:95] neg_lo:[0,1] neg_hi:[0,1]
	v_pk_add_f32 v[130:131], v[130:131], v[136:137] neg_lo:[0,1] neg_hi:[0,1]
	v_mov_b32_e32 v91, v199
	v_mov_b32_e32 v200, v82
	;; [unrolled: 1-line block ×3, first 2 shown]
	v_pk_add_f32 v[82:83], v[198:199], v[82:83]
	v_pk_add_f32 v[180:181], v[180:181], v[178:179] neg_lo:[0,1] neg_hi:[0,1]
	v_pk_mul_f32 v[194:195], v[194:195], s[28:29]
	v_pk_add_f32 v[196:197], v[94:95], v[178:179]
	v_pk_add_f32 v[200:201], v[90:91], v[200:201] neg_lo:[0,1] neg_hi:[0,1]
	v_pk_add_f32 v[84:85], v[84:85], v[82:83]
	v_pk_mul_f32 v[130:131], v[130:131], s[22:23]
	v_pk_mul_f32 v[182:183], v[180:181], s[26:27]
	v_pk_add_f32 v[196:197], v[196:197], v[188:189]
	v_pk_mul_f32 v[198:199], v[200:201], s[24:25]
	v_pk_fma_f32 v[82:83], v[82:83], s[20:21], v[84:85] op_sel_hi:[1,0,1] neg_lo:[1,0,0] neg_hi:[1,0,0]
	v_pk_fma_f32 v[200:201], v[200:201], s[24:25], v[130:131]
	v_pk_fma_f32 v[180:181], v[180:181], s[26:27], v[194:195]
	v_pk_add_f32 v[200:201], v[200:201], v[82:83]
	v_pk_fma_f32 v[180:181], v[196:197], s[6:7], v[180:181] op_sel_hi:[1,0,1]
	v_mov_b32_e32 v206, v93
	v_mov_b32_e32 v207, v98
	v_mul_f32_e32 v110, v88, v29
	v_pk_add_f32 v[202:203], v[200:201], v[180:181]
	v_pk_add_f32 v[180:181], v[200:201], v[180:181] neg_lo:[0,1] neg_hi:[0,1]
	v_mov_b32_e32 v200, v92
	v_mov_b32_e32 v201, v99
	v_pk_mul_f32 v[98:99], v[206:207], v[124:125]
	v_fmac_f32_e32 v110, v89, v28
	v_pk_fma_f32 v[124:125], v[92:93], v[20:21], v[98:99] neg_lo:[0,0,1] neg_hi:[0,0,1]
	v_pk_fma_f32 v[98:99], v[200:201], v[122:123], v[98:99]
	v_mov_b32_e32 v122, v88
	v_mov_b32_e32 v88, v89
	;; [unrolled: 1-line block ×4, first 2 shown]
	v_pk_mul_f32 v[88:89], v[88:89], v[120:121]
	v_mul_f32_e32 v4, v81, v25
	v_pk_fma_f32 v[92:93], v[122:123], v[16:17], v[88:89] neg_lo:[0,0,1] neg_hi:[0,0,1]
	v_pk_fma_f32 v[88:89], v[122:123], v[16:17], v[88:89]
	v_mov_b32_e32 v122, v75
	v_mov_b32_e32 v123, v80
	v_mul_f32_e32 v112, v78, v27
	v_fma_f32 v117, v80, v24, -v4
	v_mov_b32_e32 v120, v74
	v_mov_b32_e32 v121, v81
	v_pk_mul_f32 v[80:81], v[122:123], v[204:205]
	v_fmac_f32_e32 v112, v79, v26
	v_pk_fma_f32 v[122:123], v[74:75], v[22:23], v[80:81] neg_lo:[0,0,1] neg_hi:[0,0,1]
	v_pk_fma_f32 v[80:81], v[120:121], v[118:119], v[80:81]
	v_mov_b32_e32 v118, v78
	v_mov_b32_e32 v78, v79
	;; [unrolled: 1-line block ×4, first 2 shown]
	v_pk_mul_f32 v[72:73], v[78:79], v[72:73]
	v_mov_b32_e32 v125, v99
	v_pk_fma_f32 v[74:75], v[118:119], v[2:3], v[72:73] neg_lo:[0,0,1] neg_hi:[0,0,1]
	v_pk_fma_f32 v[72:73], v[118:119], v[2:3], v[72:73]
	v_mov_b32_e32 v93, v89
	v_mov_b32_e32 v123, v81
	;; [unrolled: 1-line block ×11, first 2 shown]
	v_add_f32_e32 v97, v110, v112
	v_add_f32_e32 v86, v115, v117
	v_pk_add_f32 v[78:79], v[110:111], v[112:113] neg_lo:[0,1] neg_hi:[0,1]
	v_pk_add_f32 v[80:81], v[114:115], v[116:117] neg_lo:[0,1] neg_hi:[0,1]
	v_pk_add_f32 v[98:99], v[124:125], v[122:123]
	v_pk_add_f32 v[74:75], v[92:93], v[74:75]
	v_pk_add_f32 v[72:73], v[72:73], v[88:89] neg_lo:[0,1] neg_hi:[0,1]
	v_add_f32_e32 v88, v86, v74
	v_add_f32_e32 v93, v99, v97
	v_mov_b32_e32 v96, v98
	v_mov_b32_e32 v87, v75
	;; [unrolled: 1-line block ×8, first 2 shown]
	v_pk_add_f32 v[110:111], v[96:97], v[86:87] neg_lo:[0,1] neg_hi:[0,1]
	v_pk_add_f32 v[114:115], v[72:73], v[80:81]
	v_pk_add_f32 v[116:117], v[116:117], v[118:119] neg_lo:[0,1] neg_hi:[0,1]
	v_mov_b32_e32 v118, v78
	v_mov_b32_e32 v73, v81
	v_pk_add_f32 v[88:89], v[88:89], v[92:93]
	v_pk_add_f32 v[112:113], v[74:75], v[98:99] neg_lo:[0,1] neg_hi:[0,1]
	v_pk_add_f32 v[72:73], v[118:119], v[72:73] neg_lo:[0,1] neg_hi:[0,1]
	v_pk_add_f32 v[70:71], v[70:71], v[88:89]
	v_pk_mul_f32 v[110:111], v[110:111], s[22:23]
	v_pk_mul_f32 v[116:117], v[116:117], s[28:29]
	v_pk_add_f32 v[92:93], v[114:115], v[78:79]
	v_pk_mul_f32 v[114:115], v[112:113], s[24:25]
	v_pk_mul_f32 v[118:119], v[72:73], s[26:27]
	v_pk_fma_f32 v[88:89], v[88:89], s[20:21], v[70:71] op_sel_hi:[1,0,1] neg_lo:[1,0,0] neg_hi:[1,0,0]
	v_pk_fma_f32 v[112:113], v[112:113], s[24:25], v[110:111]
	v_pk_fma_f32 v[72:73], v[72:73], s[26:27], v[116:117]
	v_pk_add_f32 v[112:113], v[112:113], v[88:89]
	v_pk_fma_f32 v[72:73], v[92:93], s[6:7], v[72:73] op_sel_hi:[1,0,1]
	s_nop 0
	v_pk_add_f32 v[120:121], v[112:113], v[72:73] neg_lo:[0,1] neg_hi:[0,1]
	v_pk_add_f32 v[72:73], v[112:113], v[72:73]
	v_mov_b32_e32 v112, v210
	v_mov_b32_e32 v113, v77
	; wave barrier
	ds_write2_b64 v142, v[68:69], v[112:113] offset1:55
	v_mov_b32_e32 v68, v190
	v_mov_b32_e32 v69, v185
	;; [unrolled: 1-line block ×7, first 2 shown]
	ds_write2_b64 v142, v[68:69], v[112:113] offset0:110 offset1:165
	ds_write2_b64 v128, v[76:77], v[70:71] offset0:74 offset1:129
	v_pk_add_f32 v[70:71], v[86:87], v[74:75] neg_lo:[0,1] neg_hi:[0,1]
	v_pk_add_f32 v[74:75], v[80:81], v[78:79] neg_lo:[0,1] neg_hi:[0,1]
	v_mov_b32_e32 v76, v114
	v_mov_b32_e32 v77, v111
	;; [unrolled: 1-line block ×4, first 2 shown]
	v_pk_fma_f32 v[76:77], v[70:71], s[18:19], v[76:77] op_sel_hi:[1,0,1] neg_lo:[1,0,1] neg_hi:[1,0,1]
	v_pk_fma_f32 v[78:79], v[74:75], s[12:13], v[78:79] op_sel_hi:[1,0,1] neg_lo:[1,0,1] neg_hi:[1,0,1]
	v_pk_add_f32 v[76:77], v[76:77], v[88:89]
	v_pk_fma_f32 v[78:79], v[92:93], s[6:7], v[78:79] op_sel_hi:[1,0,1]
	v_mov_b32_e32 v68, v72
	v_pk_add_f32 v[80:81], v[76:77], v[78:79] neg_lo:[0,1] neg_hi:[0,1]
	v_pk_add_f32 v[76:77], v[76:77], v[78:79]
	v_mov_b32_e32 v69, v121
	v_mov_b32_e32 v78, v76
	;; [unrolled: 1-line block ×5, first 2 shown]
	ds_write2_b64 v128, v[68:69], v[78:79] offset0:184 offset1:239
	v_pk_fma_f32 v[68:69], v[70:71], s[18:19], v[110:111] op_sel_hi:[1,0,1] neg_lo:[0,0,1] neg_hi:[0,0,1]
	v_pk_fma_f32 v[70:71], v[74:75], s[12:13], v[116:117] op_sel_hi:[1,0,1] neg_lo:[0,0,1] neg_hi:[0,0,1]
	v_pk_add_f32 v[68:69], v[68:69], v[88:89]
	v_pk_fma_f32 v[70:71], v[92:93], s[6:7], v[70:71] op_sel_hi:[1,0,1]
	v_lshlrev_b32_e32 v1, 3, v0
	v_pk_add_f32 v[74:75], v[68:69], v[70:71]
	v_pk_add_f32 v[68:69], v[68:69], v[70:71] neg_lo:[0,1] neg_hi:[0,1]
	v_mov_b32_e32 v133, v141
	v_mov_b32_e32 v185, v191
	;; [unrolled: 1-line block ×9, first 2 shown]
	v_add_u32_e32 v0, 0x1800, v1
	v_mov_b32_e32 v95, v179
	v_mov_b32_e32 v137, v192
	;; [unrolled: 1-line block ×3, first 2 shown]
	ds_write2_b64 v127, v[132:133], v[184:185] offset0:92 offset1:147
	ds_write2_b64 v126, v[70:71], v[74:75] offset0:38 offset1:93
	;; [unrolled: 1-line block ×4, first 2 shown]
	v_pk_add_f32 v[68:69], v[94:95], v[188:189] neg_lo:[0,1] neg_hi:[0,1]
	v_pk_add_f32 v[70:71], v[136:137], v[90:91] neg_lo:[0,1] neg_hi:[0,1]
	v_mov_b32_e32 v72, v198
	v_mov_b32_e32 v73, v131
	;; [unrolled: 1-line block ×6, first 2 shown]
	v_pk_fma_f32 v[72:73], v[70:71], s[18:19], v[72:73] op_sel_hi:[1,0,1] neg_lo:[1,0,1] neg_hi:[1,0,1]
	v_pk_fma_f32 v[74:75], v[68:69], s[12:13], v[74:75] op_sel_hi:[1,0,1] neg_lo:[1,0,1] neg_hi:[1,0,1]
	;; [unrolled: 1-line block ×4, first 2 shown]
	v_pk_add_f32 v[72:73], v[72:73], v[82:83]
	v_pk_fma_f32 v[74:75], v[196:197], s[6:7], v[74:75] op_sel_hi:[1,0,1]
	v_pk_add_f32 v[70:71], v[70:71], v[82:83]
	v_pk_fma_f32 v[68:69], v[196:197], s[6:7], v[68:69] op_sel_hi:[1,0,1]
	v_pk_add_f32 v[76:77], v[72:73], v[74:75]
	v_pk_add_f32 v[72:73], v[72:73], v[74:75] neg_lo:[0,1] neg_hi:[0,1]
	v_pk_add_f32 v[78:79], v[70:71], v[68:69] neg_lo:[0,1] neg_hi:[0,1]
	v_pk_add_f32 v[68:69], v[70:71], v[68:69]
	v_mov_b32_e32 v74, v76
	v_mov_b32_e32 v75, v73
	;; [unrolled: 1-line block ×4, first 2 shown]
	ds_write2_b64 v0, v[74:75], v[70:71] offset0:112 offset1:167
	v_mov_b32_e32 v69, v79
	v_mov_b32_e32 v73, v77
	v_add_u32_e32 v0, 0x1c00, v1
	ds_write2_b64 v0, v[68:69], v[72:73] offset0:94 offset1:149
	v_mov_b32_e32 v181, v203
	v_lshl_add_u64 v[68:69], v[106:107], 4, s[0:1]
	ds_write_b64 v1, v[180:181] offset:8800
	s_waitcnt lgkmcnt(0)
	; wave barrier
	s_waitcnt lgkmcnt(0)
	global_load_dwordx4 v[80:83], v[68:69], off offset:2992
	v_lshl_add_u64 v[84:85], v[104:105], 4, s[0:1]
	global_load_dwordx4 v[84:87], v[84:85], off offset:2992
	v_lshl_add_u64 v[68:69], v[102:103], 4, s[0:1]
	global_load_dwordx4 v[76:79], v[68:69], off offset:2992
	v_lshlrev_b32_e32 v0, 4, v6
	v_accvgpr_write_b32 a9, v1
	v_add_u32_e32 v1, 0x1130, v0
	global_load_dwordx4 v[72:75], v1, s[0:1] offset:2992
	v_add_u32_e32 v0, 0x14a0, v0
	global_load_dwordx4 v[68:71], v0, s[0:1] offset:2992
	v_lshlrev_b32_e32 v88, 3, v6
	v_mov_b32_e32 v89, 0
	v_lshlrev_b32_e32 v0, 5, v6
	v_lshl_add_u64 v[118:119], s[16:17], 0, v[88:89]
	v_sub_co_u32_e32 v88, vcc, v108, v0
	ds_read2_b64 v[102:105], v126 offset0:148 offset1:203
	ds_read2_b64 v[110:113], v129 offset0:94 offset1:149
	v_subbrev_co_u32_e32 v89, vcc, 0, v109, vcc
	v_lshlrev_b32_e32 v0, 4, v100
	ds_read2_b64 v[96:99], v126 offset0:38 offset1:93
	global_load_dwordx4 v[92:95], v[88:89], off offset:2992
	s_nop 0
	global_load_dwordx4 v[88:91], v0, s[0:1] offset:2992
	ds_read2_b64 v[120:123], v142 offset0:110 offset1:165
	ds_read2_b64 v[130:133], v134 offset0:112 offset1:167
	s_mov_b32 s0, 0x3f5db3d7
	ds_read2_b64 v[106:109], v127 offset0:92 offset1:147
	v_accvgpr_write_b32 a43, v17
	v_accvgpr_write_b32 a47, v3
	;; [unrolled: 1-line block ×4, first 2 shown]
	s_movk_i32 s6, 0x1000
	s_waitcnt vmcnt(6) lgkmcnt(3)
	v_pk_mul_f32 v[100:101], v[96:97], v[80:81] op_sel:[0,1]
	s_nop 0
	v_pk_fma_f32 v[124:125], v[96:97], v[80:81], v[100:101] op_sel:[0,0,1] op_sel_hi:[1,1,0] neg_lo:[0,0,1] neg_hi:[0,0,1]
	v_pk_fma_f32 v[96:97], v[96:97], v[80:81], v[100:101] op_sel:[0,0,1] op_sel_hi:[1,0,0]
	v_mov_b32_e32 v20, v83
	v_mov_b32_e32 v125, v97
	s_waitcnt lgkmcnt(1)
	v_pk_mul_f32 v[96:97], v[132:133], v[20:21] op_sel_hi:[1,0]
	s_waitcnt vmcnt(4)
	v_mov_b32_e32 v20, v79
	v_pk_fma_f32 v[136:137], v[132:133], v[82:83], v[96:97] op_sel:[0,0,1] op_sel_hi:[1,1,0] neg_lo:[0,0,1] neg_hi:[0,0,1]
	v_pk_fma_f32 v[96:97], v[132:133], v[82:83], v[96:97] op_sel:[0,0,1] op_sel_hi:[1,0,0]
	s_waitcnt vmcnt(3)
	v_pk_mul_f32 v[180:181], v[102:103], v[72:73] op_sel:[0,1]
	v_mov_b32_e32 v137, v97
	v_pk_add_f32 v[96:97], v[124:125], v[136:137]
	v_pk_add_f32 v[100:101], v[124:125], v[136:137] neg_lo:[0,1] neg_hi:[0,1]
	v_pk_fma_f32 v[96:97], v[96:97], 0.5, v[122:123] op_sel_hi:[1,0,1] neg_lo:[1,0,0] neg_hi:[1,0,0]
	v_pk_mul_f32 v[100:101], v[100:101], s[0:1] op_sel_hi:[1,0]
	v_pk_fma_f32 v[182:183], v[102:103], v[72:73], v[180:181] op_sel:[1,0,0] op_sel_hi:[0,1,1]
	v_pk_add_f32 v[132:133], v[96:97], v[100:101] op_sel:[0,1] op_sel_hi:[1,0] neg_lo:[0,1] neg_hi:[0,1]
	v_pk_add_f32 v[140:141], v[96:97], v[100:101] op_sel:[0,1] op_sel_hi:[1,0]
	v_pk_mul_f32 v[100:101], v[98:99], v[76:77] op_sel:[0,1]
	v_pk_fma_f32 v[180:181], v[102:103], v[72:73], v[180:181] op_sel:[1,0,0] op_sel_hi:[0,0,1] neg_lo:[0,0,1] neg_hi:[0,0,1]
	v_pk_fma_f32 v[114:115], v[98:99], v[76:77], v[100:101] op_sel:[0,0,1] op_sel_hi:[1,1,0] neg_lo:[0,0,1] neg_hi:[0,0,1]
	v_pk_fma_f32 v[98:99], v[98:99], v[76:77], v[100:101] op_sel:[0,0,1] op_sel_hi:[1,0,0]
	v_mov_b32_e32 v183, v181
	v_mov_b32_e32 v115, v99
	v_pk_mul_f32 v[98:99], v[110:111], v[20:21] op_sel_hi:[1,0]
	v_mov_b32_e32 v20, v75
	v_pk_fma_f32 v[100:101], v[110:111], v[78:79], v[98:99] op_sel:[0,0,1] op_sel_hi:[1,1,0] neg_lo:[0,0,1] neg_hi:[0,0,1]
	v_pk_fma_f32 v[98:99], v[110:111], v[78:79], v[98:99] op_sel:[0,0,1] op_sel_hi:[1,0,0]
	v_pk_mul_f32 v[102:103], v[112:113], v[20:21] op_sel_hi:[1,0]
	v_mov_b32_e32 v101, v99
	s_waitcnt lgkmcnt(0)
	v_pk_add_f32 v[98:99], v[106:107], v[114:115]
	v_pk_add_f32 v[110:111], v[114:115], v[100:101]
	;; [unrolled: 1-line block ×3, first 2 shown]
	v_pk_add_f32 v[100:101], v[114:115], v[100:101] neg_lo:[0,1] neg_hi:[0,1]
	ds_read2_b64 v[114:117], v128 offset0:74 offset1:129
	ds_read_b64 v[178:179], v142 offset:8800
	v_pk_fma_f32 v[184:185], v[112:113], v[74:75], v[102:103] op_sel:[1,0,0] op_sel_hi:[0,1,1]
	v_pk_fma_f32 v[112:113], v[112:113], v[74:75], v[102:103] op_sel:[1,0,0] op_sel_hi:[0,0,1] neg_lo:[0,0,1] neg_hi:[0,0,1]
	s_waitcnt vmcnt(2)
	v_pk_mul_f32 v[102:103], v[104:105], v[68:69] op_sel:[0,1]
	v_mov_b32_e32 v20, v71
	v_pk_fma_f32 v[186:187], v[104:105], v[68:69], v[102:103] op_sel:[0,0,1] op_sel_hi:[1,1,0] neg_lo:[0,0,1] neg_hi:[0,0,1]
	v_pk_fma_f32 v[102:103], v[104:105], v[68:69], v[102:103] op_sel:[0,0,1] op_sel_hi:[1,0,0]
	v_mov_b32_e32 v185, v113
	v_mov_b32_e32 v187, v103
	s_waitcnt lgkmcnt(0)
	v_pk_mul_f32 v[102:103], v[178:179], v[20:21] op_sel_hi:[1,0]
	s_waitcnt vmcnt(1)
	v_mov_b32_e32 v20, v95
	v_pk_fma_f32 v[188:189], v[178:179], v[70:71], v[102:103] op_sel:[0,0,1] op_sel_hi:[1,1,0] neg_lo:[0,0,1] neg_hi:[0,0,1]
	v_pk_fma_f32 v[102:103], v[178:179], v[70:71], v[102:103] op_sel:[0,0,1] op_sel_hi:[1,0,0]
	v_pk_mul_f32 v[100:101], v[100:101], s[0:1] op_sel_hi:[1,0]
	v_mov_b32_e32 v189, v103
	v_pk_fma_f32 v[102:103], v[110:111], 0.5, v[106:107] op_sel_hi:[1,0,1] neg_lo:[1,0,0] neg_hi:[1,0,0]
	v_mov_b32_e32 v106, v181
	v_mov_b32_e32 v107, v182
	;; [unrolled: 1-line block ×4, first 2 shown]
	v_pk_add_f32 v[104:105], v[108:109], v[106:107]
	v_pk_add_f32 v[106:107], v[106:107], v[110:111]
	;; [unrolled: 1-line block ×3, first 2 shown]
	v_pk_fma_f32 v[106:107], v[106:107], 0.5, v[108:109] op_sel_hi:[1,0,1] neg_lo:[1,0,0] neg_hi:[1,0,0]
	v_pk_add_f32 v[108:109], v[182:183], v[184:185] neg_lo:[0,1] neg_hi:[0,1]
	ds_read2_b64 v[178:181], v142 offset1:55
	ds_read2_b64 v[182:185], v134 offset0:2 offset1:57
	v_pk_fma_f32 v[112:113], v[108:109], s[0:1], v[106:107] op_sel_hi:[1,0,1]
	v_pk_fma_f32 v[110:111], v[108:109], s[0:1], v[106:107] op_sel_hi:[1,0,1] neg_lo:[1,0,0] neg_hi:[1,0,0]
	v_pk_add_f32 v[108:109], v[114:115], v[186:187]
	v_mov_b32_e32 v106, v112
	v_mov_b32_e32 v107, v111
	;; [unrolled: 1-line block ×3, first 2 shown]
	v_pk_add_f32 v[112:113], v[108:109], v[188:189]
	v_pk_add_f32 v[108:109], v[186:187], v[188:189]
	v_pk_add_f32 v[190:191], v[102:103], v[100:101] op_sel:[0,1] op_sel_hi:[1,0] neg_lo:[0,1] neg_hi:[0,1]
	v_pk_fma_f32 v[108:109], v[108:109], 0.5, v[114:115] op_sel_hi:[1,0,1] neg_lo:[1,0,0] neg_hi:[1,0,0]
	v_pk_add_f32 v[114:115], v[186:187], v[188:189] neg_lo:[0,1] neg_hi:[0,1]
	v_pk_mul_f32 v[186:187], v[116:117], v[92:93] op_sel:[0,1]
	v_pk_mul_f32 v[114:115], v[114:115], s[0:1] op_sel_hi:[1,0]
	v_pk_fma_f32 v[194:195], v[116:117], v[92:93], v[186:187] op_sel:[0,0,1] op_sel_hi:[1,1,0] neg_lo:[0,0,1] neg_hi:[0,0,1]
	v_pk_fma_f32 v[116:117], v[116:117], v[92:93], v[186:187] op_sel:[0,0,1] op_sel_hi:[1,0,0]
	v_pk_add_f32 v[192:193], v[108:109], v[114:115] op_sel:[0,1] op_sel_hi:[1,0]
	v_mov_b32_e32 v195, v117
	s_waitcnt lgkmcnt(0)
	v_pk_mul_f32 v[116:117], v[182:183], v[20:21] op_sel_hi:[1,0]
	s_waitcnt vmcnt(0)
	v_mov_b32_e32 v20, v91
	v_pk_fma_f32 v[196:197], v[182:183], v[94:95], v[116:117] op_sel:[0,0,1] op_sel_hi:[1,1,0] neg_lo:[0,0,1] neg_hi:[0,0,1]
	v_pk_fma_f32 v[116:117], v[182:183], v[94:95], v[116:117] op_sel:[0,0,1] op_sel_hi:[1,0,0]
	v_pk_add_f32 v[100:101], v[102:103], v[100:101] op_sel:[0,1] op_sel_hi:[1,0]
	v_mov_b32_e32 v197, v117
	v_pk_add_f32 v[116:117], v[194:195], v[196:197]
	v_pk_add_f32 v[182:183], v[194:195], v[196:197] neg_lo:[0,1] neg_hi:[0,1]
	v_pk_fma_f32 v[116:117], v[116:117], 0.5, v[178:179] op_sel_hi:[1,0,1] neg_lo:[1,0,0] neg_hi:[1,0,0]
	v_pk_mul_f32 v[182:183], v[182:183], s[0:1] op_sel_hi:[1,0]
	v_pk_add_f32 v[178:179], v[178:179], v[194:195]
	v_pk_add_f32 v[186:187], v[116:117], v[182:183] op_sel:[0,1] op_sel_hi:[1,0]
	v_pk_add_f32 v[116:117], v[116:117], v[182:183] op_sel:[0,1] op_sel_hi:[1,0] neg_lo:[0,1] neg_hi:[0,1]
	v_mov_b32_e32 v182, v186
	v_mov_b32_e32 v183, v117
	;; [unrolled: 1-line block ×3, first 2 shown]
	ds_write_b64 v142, v[182:183] offset:3080
	ds_write_b64 v142, v[116:117] offset:6160
	ds_read2_b64 v[186:189], v128 offset0:184 offset1:239
	v_pk_add_f32 v[116:117], v[108:109], v[114:115] op_sel:[0,1] op_sel_hi:[1,0] neg_lo:[0,1] neg_hi:[0,1]
	v_pk_add_f32 v[178:179], v[178:179], v[196:197]
	v_mov_b32_e32 v96, v132
	v_mov_b32_e32 v97, v141
	s_waitcnt lgkmcnt(0)
	v_pk_mul_f32 v[108:109], v[186:187], v[88:89] op_sel:[0,1]
	v_mov_b32_e32 v103, v101
	v_pk_fma_f32 v[182:183], v[186:187], v[88:89], v[108:109] op_sel:[0,0,1] op_sel_hi:[1,1,0] neg_lo:[0,0,1] neg_hi:[0,0,1]
	v_pk_fma_f32 v[108:109], v[186:187], v[88:89], v[108:109] op_sel:[0,0,1] op_sel_hi:[1,0,0]
	v_mov_b32_e32 v141, v133
	v_mov_b32_e32 v183, v109
	v_pk_mul_f32 v[108:109], v[184:185], v[20:21] op_sel_hi:[1,0]
	v_mov_b32_e32 v20, v87
	v_pk_fma_f32 v[186:187], v[184:185], v[90:91], v[108:109] op_sel:[0,0,1] op_sel_hi:[1,1,0] neg_lo:[0,0,1] neg_hi:[0,0,1]
	v_pk_fma_f32 v[108:109], v[184:185], v[90:91], v[108:109] op_sel:[0,0,1] op_sel_hi:[1,0,0]
	v_mov_b32_e32 v101, v191
	v_mov_b32_e32 v187, v109
	v_pk_add_f32 v[108:109], v[180:181], v[182:183]
	v_pk_add_f32 v[184:185], v[182:183], v[186:187]
	v_pk_add_f32 v[182:183], v[182:183], v[186:187] neg_lo:[0,1] neg_hi:[0,1]
	v_pk_fma_f32 v[180:181], v[184:185], 0.5, v[180:181] op_sel_hi:[1,0,1] neg_lo:[1,0,0] neg_hi:[1,0,0]
	v_pk_mul_f32 v[182:183], v[182:183], s[0:1] op_sel_hi:[1,0]
	v_pk_add_f32 v[108:109], v[108:109], v[186:187]
	v_pk_add_f32 v[184:185], v[180:181], v[182:183] op_sel:[0,1] op_sel_hi:[1,0]
	v_pk_add_f32 v[180:181], v[180:181], v[182:183] op_sel:[0,1] op_sel_hi:[1,0] neg_lo:[0,1] neg_hi:[0,1]
	v_mov_b32_e32 v182, v184
	v_mov_b32_e32 v183, v181
	;; [unrolled: 1-line block ×3, first 2 shown]
	v_pk_mul_f32 v[184:185], v[188:189], v[84:85] op_sel:[0,1]
	ds_write2_b64 v142, v[178:179], v[108:109] offset1:55
	v_pk_fma_f32 v[186:187], v[188:189], v[84:85], v[184:185] op_sel:[0,0,1] op_sel_hi:[1,1,0] neg_lo:[0,0,1] neg_hi:[0,0,1]
	v_pk_fma_f32 v[184:185], v[188:189], v[84:85], v[184:185] op_sel:[0,0,1] op_sel_hi:[1,0,0]
	v_mov_b32_e32 v102, v190
	v_mov_b32_e32 v187, v185
	v_pk_mul_f32 v[184:185], v[130:131], v[20:21] op_sel_hi:[1,0]
	v_mov_b32_e32 v114, v192
	v_pk_fma_f32 v[188:189], v[130:131], v[86:87], v[184:185] op_sel:[0,0,1] op_sel_hi:[1,1,0] neg_lo:[0,0,1] neg_hi:[0,0,1]
	v_pk_fma_f32 v[130:131], v[130:131], v[86:87], v[184:185] op_sel:[0,0,1] op_sel_hi:[1,0,0]
	v_mov_b32_e32 v115, v117
	v_mov_b32_e32 v189, v131
	v_pk_add_f32 v[108:109], v[186:187], v[188:189]
	v_pk_add_f32 v[130:131], v[120:121], v[186:187]
	v_pk_fma_f32 v[108:109], v[108:109], 0.5, v[120:121] op_sel_hi:[1,0,1] neg_lo:[1,0,0] neg_hi:[1,0,0]
	v_pk_add_f32 v[120:121], v[186:187], v[188:189] neg_lo:[0,1] neg_hi:[0,1]
	v_pk_add_f32 v[130:131], v[130:131], v[188:189]
	v_pk_mul_f32 v[120:121], v[120:121], s[0:1] op_sel_hi:[1,0]
	s_movk_i32 s0, 0x2000
	v_pk_add_f32 v[178:179], v[108:109], v[120:121] op_sel:[0,1] op_sel_hi:[1,0]
	v_pk_add_f32 v[108:109], v[108:109], v[120:121] op_sel:[0,1] op_sel_hi:[1,0] neg_lo:[0,1] neg_hi:[0,1]
	v_mov_b32_e32 v120, v178
	v_mov_b32_e32 v121, v109
	;; [unrolled: 1-line block ×3, first 2 shown]
	ds_write2_b64 v134, v[180:181], v[108:109] offset0:57 offset1:112
	v_pk_add_f32 v[108:109], v[122:123], v[124:125]
	v_mov_b32_e32 v117, v193
	v_pk_add_f32 v[108:109], v[108:109], v[136:137]
	ds_write2_b64 v142, v[130:131], v[108:109] offset0:110 offset1:165
	v_add_co_u32_e32 v108, vcc, s0, v118
	ds_write2_b64 v128, v[182:183], v[120:121] offset0:184 offset1:239
	s_nop 0
	v_addc_co_u32_e32 v109, vcc, 0, v119, vcc
	ds_write_b64 v142, v[96:97] offset:7480
	ds_write2_b64 v126, v[140:141], v[100:101] offset0:38 offset1:93
	ds_write2_b64 v127, v[98:99], v[104:105] offset0:92 offset1:147
	;; [unrolled: 1-line block ×3, first 2 shown]
	ds_write_b64 v142, v[112:113] offset:2640
	ds_write2_b64 v126, v[106:107], v[114:115] offset0:148 offset1:203
	ds_write_b64 v142, v[116:117] offset:8800
	s_waitcnt lgkmcnt(0)
	; wave barrier
	s_waitcnt lgkmcnt(0)
	global_load_dwordx2 v[122:123], v[108:109], off offset:1048
	s_mov_b64 s[0:1], 0x2418
	v_lshl_add_u64 v[108:109], v[118:119], 0, s[0:1]
	global_load_dwordx2 v[124:125], v[108:109], off offset:840
	global_load_dwordx2 v[130:131], v[108:109], off offset:1680
	;; [unrolled: 1-line block ×4, first 2 shown]
	s_movk_i32 s0, 0x3000
	v_add_co_u32_e32 v120, vcc, s0, v118
	s_movk_i32 s0, 0x4000
	s_nop 0
	v_addc_co_u32_e32 v121, vcc, 0, v119, vcc
	global_load_dwordx2 v[140:141], v[120:121], off offset:1152
	global_load_dwordx2 v[178:179], v[120:121], off offset:1992
	;; [unrolled: 1-line block ×4, first 2 shown]
	v_add_co_u32_e32 v118, vcc, s0, v118
	v_add_u32_e32 v20, 0xc00, v142
	s_nop 0
	v_addc_co_u32_e32 v119, vcc, 0, v119, vcc
	global_load_dwordx2 v[184:185], v[118:119], off offset:416
	global_load_dwordx2 v[186:187], v[118:119], off offset:1256
	ds_read2_b64 v[118:121], v142 offset1:105
	s_waitcnt vmcnt(10) lgkmcnt(0)
	v_mul_f32_e32 v0, v119, v123
	v_mul_f32_e32 v189, v118, v123
	v_fma_f32 v188, v118, v122, -v0
	v_fmac_f32_e32 v189, v119, v122
	s_waitcnt vmcnt(9)
	v_mul_f32_e32 v0, v121, v125
	v_mul_f32_e32 v119, v120, v125
	v_fma_f32 v118, v120, v124, -v0
	v_fmac_f32_e32 v119, v121, v124
	ds_write2_b64 v142, v[188:189], v[118:119] offset1:105
	ds_read2_b64 v[118:121], v127 offset0:82 offset1:187
	ds_read2_b64 v[122:125], v20 offset0:36 offset1:141
	s_waitcnt vmcnt(8) lgkmcnt(1)
	v_mul_f32_e32 v0, v119, v131
	v_mul_f32_e32 v189, v118, v131
	v_fma_f32 v188, v118, v130, -v0
	v_fmac_f32_e32 v189, v119, v130
	s_waitcnt vmcnt(7)
	v_mul_f32_e32 v0, v121, v133
	v_mul_f32_e32 v119, v120, v133
	v_fma_f32 v118, v120, v132, -v0
	v_fmac_f32_e32 v119, v121, v132
	ds_write2_b64 v127, v[188:189], v[118:119] offset0:82 offset1:187
	ds_read2_b64 v[118:121], v126 offset0:118 offset1:223
	s_waitcnt vmcnt(6) lgkmcnt(2)
	v_mul_f32_e32 v0, v123, v137
	v_mul_f32_e32 v131, v122, v137
	v_fma_f32 v130, v122, v136, -v0
	v_fmac_f32_e32 v131, v123, v136
	s_waitcnt vmcnt(5)
	v_mul_f32_e32 v0, v125, v141
	v_mul_f32_e32 v123, v124, v141
	v_fma_f32 v122, v124, v140, -v0
	v_fmac_f32_e32 v123, v125, v140
	ds_write2_b64 v20, v[130:131], v[122:123] offset0:36 offset1:141
	ds_read2_b64 v[122:125], v134 offset0:72 offset1:177
	s_waitcnt vmcnt(4) lgkmcnt(2)
	v_mul_f32_e32 v0, v119, v179
	v_mul_f32_e32 v131, v118, v179
	v_fma_f32 v130, v118, v178, -v0
	v_fmac_f32_e32 v131, v119, v178
	s_waitcnt vmcnt(3)
	v_mul_f32_e32 v0, v121, v181
	v_mul_f32_e32 v119, v120, v181
	v_fma_f32 v118, v120, v180, -v0
	v_fmac_f32_e32 v119, v121, v180
	ds_read_b64 v[120:121], v142 offset:8400
	ds_write2_b64 v126, v[130:131], v[118:119] offset0:118 offset1:223
	s_waitcnt vmcnt(2) lgkmcnt(2)
	v_mul_f32_e32 v0, v123, v183
	v_mul_f32_e32 v119, v122, v183
	v_fma_f32 v118, v122, v182, -v0
	v_fmac_f32_e32 v119, v123, v182
	s_waitcnt vmcnt(1)
	v_mul_f32_e32 v0, v125, v185
	v_mul_f32_e32 v123, v124, v185
	v_fma_f32 v122, v124, v184, -v0
	v_fmac_f32_e32 v123, v125, v184
	ds_write2_b64 v134, v[118:119], v[122:123] offset0:72 offset1:177
	s_waitcnt vmcnt(0) lgkmcnt(2)
	v_mul_f32_e32 v0, v121, v187
	v_mul_f32_e32 v119, v120, v187
	v_fma_f32 v118, v120, v186, -v0
	v_fmac_f32_e32 v119, v121, v186
	ds_write_b64 v142, v[118:119] offset:8400
	s_and_saveexec_b64 s[0:1], s[4:5]
	s_cbranch_execz .LBB0_13
; %bb.12:
	global_load_dwordx2 v[122:123], v[108:109], off offset:440
	global_load_dwordx2 v[124:125], v[108:109], off offset:1280
	;; [unrolled: 1-line block ×5, first 2 shown]
	v_add_co_u32_e32 v118, vcc, s6, v108
	v_add_u32_e32 v0, 0x1400, v142
	s_nop 0
	v_addc_co_u32_e32 v119, vcc, 0, v109, vcc
	v_add_co_u32_e32 v108, vcc, 0x2000, v108
	global_load_dwordx2 v[184:185], v[118:119], off offset:544
	global_load_dwordx2 v[186:187], v[118:119], off offset:1384
	v_addc_co_u32_e32 v109, vcc, 0, v109, vcc
	global_load_dwordx2 v[188:189], v[118:119], off offset:2224
	global_load_dwordx2 v[190:191], v[118:119], off offset:3064
	;; [unrolled: 1-line block ×3, first 2 shown]
	ds_read2_b64 v[118:121], v142 offset0:55 offset1:160
	global_load_dwordx2 v[108:109], v[108:109], off offset:648
	s_waitcnt vmcnt(10) lgkmcnt(0)
	v_mul_f32_e32 v1, v119, v123
	v_mul_f32_e32 v131, v118, v123
	s_waitcnt vmcnt(9)
	v_mul_f32_e32 v2, v121, v125
	v_mul_f32_e32 v123, v120, v125
	v_fma_f32 v130, v118, v122, -v1
	v_fmac_f32_e32 v131, v119, v122
	v_fma_f32 v122, v120, v124, -v2
	v_fmac_f32_e32 v123, v121, v124
	ds_write2_b64 v142, v[130:131], v[122:123] offset0:55 offset1:160
	ds_read2_b64 v[118:121], v128 offset0:9 offset1:114
	ds_read2_b64 v[122:125], v20 offset0:91 offset1:196
	ds_read2_b64 v[130:133], v0 offset0:45 offset1:150
	ds_read2_b64 v[178:181], v134 offset0:127 offset1:232
	ds_read_b64 v[194:195], v142 offset:8840
	s_waitcnt vmcnt(8) lgkmcnt(4)
	v_mul_f32_e32 v1, v119, v137
	v_mul_f32_e32 v197, v118, v137
	s_waitcnt vmcnt(7)
	v_mul_f32_e32 v2, v121, v141
	v_mul_f32_e32 v137, v120, v141
	s_waitcnt vmcnt(6) lgkmcnt(3)
	v_mul_f32_e32 v3, v123, v183
	v_mul_f32_e32 v141, v122, v183
	s_waitcnt vmcnt(5)
	v_mul_f32_e32 v4, v125, v185
	v_mul_f32_e32 v183, v124, v185
	;; [unrolled: 6-line block ×4, first 2 shown]
	s_waitcnt vmcnt(0) lgkmcnt(0)
	v_mul_f32_e32 v17, v195, v109
	v_mul_f32_e32 v193, v194, v109
	v_fma_f32 v196, v118, v136, -v1
	v_fmac_f32_e32 v197, v119, v136
	v_fma_f32 v136, v120, v140, -v2
	v_fmac_f32_e32 v137, v121, v140
	;; [unrolled: 2-line block ×9, first 2 shown]
	ds_write2_b64 v128, v[196:197], v[136:137] offset0:9 offset1:114
	ds_write2_b64 v20, v[140:141], v[182:183] offset0:91 offset1:196
	ds_write2_b64 v0, v[184:185], v[186:187] offset0:45 offset1:150
	ds_write2_b64 v134, v[188:189], v[190:191] offset0:127 offset1:232
	ds_write_b64 v142, v[192:193] offset:8840
.LBB0_13:
	s_or_b64 exec, exec, s[0:1]
	s_waitcnt lgkmcnt(0)
	; wave barrier
	s_waitcnt lgkmcnt(0)
	ds_read2_b64 v[118:121], v142 offset1:105
	ds_read2_b64 v[130:133], v127 offset0:82 offset1:187
	ds_read2_b64 v[122:125], v20 offset0:36 offset1:141
	;; [unrolled: 1-line block ×4, first 2 shown]
	ds_read_b64 v[238:239], v142 offset:8400
	s_and_saveexec_b64 s[0:1], s[4:5]
	s_cbranch_execz .LBB0_15
; %bb.14:
	v_add_u32_e32 v0, 0x800, v142
	ds_read2_b64 v[100:103], v0 offset0:9 offset1:114
	v_add_u32_e32 v0, 0xc00, v142
	ds_read2_b64 v[104:107], v0 offset0:91 offset1:196
	;; [unrolled: 2-line block ×4, first 2 shown]
	ds_read2_b64 v[114:117], v0 offset0:127 offset1:232
	ds_read_b64 v[138:139], v142 offset:8840
.LBB0_15:
	s_or_b64 exec, exec, s[0:1]
	s_waitcnt lgkmcnt(0)
	v_pk_add_f32 v[108:109], v[98:99], v[138:139] neg_lo:[0,1] neg_hi:[0,1]
	v_pk_add_f32 v[188:189], v[98:99], v[138:139]
	s_mov_b32 s0, 0x3ed4b147
	v_mov_b32_e32 v140, v188
	v_mov_b32_e32 v188, v109
	s_mov_b32 s42, 0xbf68dda4
	s_mov_b32 s43, s0
	v_mov_b32_e32 v141, v108
	v_pk_mul_f32 v[0:1], v[188:189], s[42:43]
	v_pk_add_f32 v[108:109], v[100:101], v[116:117] neg_lo:[0,1] neg_hi:[0,1]
	v_pk_add_f32 v[196:197], v[100:101], v[116:117]
	s_mov_b32 s28, 0xbf0a6770
	s_mov_b32 s1, s42
	v_accvgpr_write_b32 a53, v1
	v_mov_b32_e32 v180, v196
	v_mov_b32_e32 v181, v108
	;; [unrolled: 1-line block ×3, first 2 shown]
	v_pk_add_f32 v[108:109], v[102:103], v[114:115] neg_lo:[0,1] neg_hi:[0,1]
	v_pk_add_f32 v[194:195], v[102:103], v[114:115]
	s_mov_b32 s29, 0x3f575c64
	v_pk_fma_f32 v[178:179], v[140:141], s[0:1], v[0:1] neg_lo:[0,0,1] neg_hi:[0,0,1]
	v_accvgpr_write_b32 a52, v0
	v_pk_fma_f32 v[198:199], v[140:141], s[0:1], v[0:1]
	v_mov_b32_e32 v182, v194
	v_mov_b32_e32 v183, v108
	;; [unrolled: 1-line block ×3, first 2 shown]
	v_pk_add_f32 v[108:109], v[104:105], v[112:113] neg_lo:[0,1] neg_hi:[0,1]
	v_pk_add_f32 v[192:193], v[104:105], v[112:113]
	v_pk_mul_f32 v[0:1], v[188:189], s[28:29]
	v_mov_b32_e32 v184, v192
	v_mov_b32_e32 v185, v108
	;; [unrolled: 1-line block ×3, first 2 shown]
	v_pk_add_f32 v[108:109], v[106:107], v[110:111] neg_lo:[0,1] neg_hi:[0,1]
	v_pk_add_f32 v[190:191], v[106:107], v[110:111]
	s_mov_b32 s6, s29
	s_mov_b32 s7, s28
	v_accvgpr_write_b32 a55, v1
	v_mov_b32_e32 v186, v190
	v_mov_b32_e32 v187, v108
	;; [unrolled: 1-line block ×3, first 2 shown]
	v_pk_fma_f32 v[108:109], v[140:141], s[6:7], v[0:1] neg_lo:[0,0,1] neg_hi:[0,0,1]
	v_accvgpr_write_b32 a54, v0
	v_pk_fma_f32 v[204:205], v[140:141], s[6:7], v[0:1]
	v_pk_mul_f32 v[0:1], v[196:197], s[42:43]
	s_mov_b32 s22, 0xbf7d64f0
	v_accvgpr_write_b32 a57, v1
	s_mov_b32 s23, 0xbe11bafb
	v_pk_fma_f32 v[210:211], v[180:181], s[0:1], v[0:1] neg_lo:[0,0,1] neg_hi:[0,0,1]
	v_accvgpr_write_b32 a56, v0
	v_pk_fma_f32 v[206:207], v[180:181], s[0:1], v[0:1]
	v_pk_mul_f32 v[0:1], v[194:195], s[22:23]
	s_mov_b32 s26, 0xbf4178ce
	s_mov_b32 s16, s23
	;; [unrolled: 1-line block ×3, first 2 shown]
	v_accvgpr_write_b32 a59, v1
	s_mov_b32 s27, 0xbf27a4f4
	v_mov_b32_e32 v109, v205
	v_pk_fma_f32 v[214:215], v[182:183], s[16:17], v[0:1] neg_lo:[0,0,1] neg_hi:[0,0,1]
	v_accvgpr_write_b32 a58, v0
	v_pk_fma_f32 v[212:213], v[182:183], s[16:17], v[0:1]
	v_pk_mul_f32 v[0:1], v[192:193], s[26:27]
	s_mov_b32 s30, 0xbe903f40
	v_pk_add_f32 v[108:109], v[96:97], v[108:109]
	v_mov_b32_e32 v211, v207
	s_mov_b32 s12, s27
	s_mov_b32 s13, s26
	v_accvgpr_write_b32 a61, v1
	s_mov_b32 s31, 0xbf75a155
	v_pk_add_f32 v[108:109], v[210:211], v[108:109]
	v_mov_b32_e32 v215, v213
	v_pk_fma_f32 v[218:219], v[184:185], s[12:13], v[0:1] neg_lo:[0,0,1] neg_hi:[0,0,1]
	v_accvgpr_write_b32 a60, v0
	v_pk_fma_f32 v[216:217], v[184:185], s[12:13], v[0:1]
	v_pk_mul_f32 v[0:1], v[190:191], s[30:31]
	v_pk_add_f32 v[108:109], v[214:215], v[108:109]
	v_mov_b32_e32 v219, v217
	s_mov_b32 s18, s31
	s_mov_b32 s19, s30
	v_accvgpr_write_b32 a65, v1
	v_pk_add_f32 v[246:247], v[118:119], v[120:121]
	v_pk_add_f32 v[108:109], v[218:219], v[108:109]
	v_pk_fma_f32 v[218:219], v[186:187], s[18:19], v[0:1] neg_lo:[0,0,1] neg_hi:[0,0,1]
	v_accvgpr_write_b32 a64, v0
	v_pk_fma_f32 v[224:225], v[186:187], s[18:19], v[0:1]
	v_pk_mul_f32 v[0:1], v[196:197], s[26:27]
	v_mov_b32_e32 v219, v225
	v_accvgpr_write_b32 a63, v1
	s_mov_b32 s41, s31
	v_pk_add_f32 v[246:247], v[246:247], v[130:131]
	v_pk_add_f32 v[2:3], v[218:219], v[108:109]
	v_pk_fma_f32 v[226:227], v[180:181], s[12:13], v[0:1] neg_lo:[0,0,1] neg_hi:[0,0,1]
	v_accvgpr_write_b32 a62, v0
	v_pk_fma_f32 v[218:219], v[180:181], s[12:13], v[0:1]
	v_pk_mul_f32 v[0:1], v[194:195], s[40:41]
	v_pk_add_f32 v[246:247], v[246:247], v[132:133]
	s_mov_b32 s20, s31
	s_mov_b32 s21, s40
	v_accvgpr_write_b32 a67, v1
	s_mov_b32 s38, 0x3f7d64f0
	s_mov_b32 s39, s23
	v_pk_add_f32 v[246:247], v[246:247], v[122:123]
	v_mov_b32_e32 v179, v199
	v_pk_fma_f32 v[230:231], v[182:183], s[20:21], v[0:1] neg_lo:[0,0,1] neg_hi:[0,0,1]
	v_accvgpr_write_b32 a66, v0
	v_pk_fma_f32 v[228:229], v[182:183], s[20:21], v[0:1]
	v_pk_mul_f32 v[0:1], v[192:193], s[38:39]
	v_pk_add_f32 v[246:247], v[246:247], v[124:125]
	v_pk_add_f32 v[178:179], v[96:97], v[178:179]
	v_mov_b32_e32 v227, v219
	s_mov_b32 s24, s23
	s_mov_b32 s25, s38
	v_accvgpr_write_b32 a69, v1
	s_mov_b32 s36, 0x3f0a6770
	s_mov_b32 s37, s29
	v_pk_add_f32 v[246:247], v[246:247], v[126:127]
	v_pk_add_f32 v[178:179], v[226:227], v[178:179]
	v_mov_b32_e32 v231, v229
	v_pk_fma_f32 v[234:235], v[184:185], s[24:25], v[0:1] neg_lo:[0,0,1] neg_hi:[0,0,1]
	v_accvgpr_write_b32 a68, v0
	v_pk_fma_f32 v[232:233], v[184:185], s[24:25], v[0:1]
	v_pk_mul_f32 v[0:1], v[190:191], s[36:37]
	s_mov_b32 s34, s29
	s_mov_b32 s35, s36
	v_pk_add_f32 v[246:247], v[246:247], v[128:129]
	v_pk_add_f32 v[178:179], v[230:231], v[178:179]
	v_mov_b32_e32 v235, v233
	v_pk_fma_f32 v[248:249], v[186:187], s[34:35], v[0:1] neg_lo:[0,0,1] neg_hi:[0,0,1]
	v_pk_fma_f32 v[236:237], v[186:187], s[34:35], v[0:1]
	v_pk_add_f32 v[246:247], v[246:247], v[134:135]
	v_pk_add_f32 v[178:179], v[234:235], v[178:179]
	v_accvgpr_write_b32 a71, v1
	v_mov_b32_e32 v249, v237
	v_pk_add_f32 v[246:247], v[246:247], v[136:137]
	v_pk_add_f32 v[250:251], v[120:121], v[238:239] neg_lo:[0,1] neg_hi:[0,1]
	v_accvgpr_write_b32 a70, v0
	v_pk_add_f32 v[0:1], v[248:249], v[178:179]
	v_pk_add_f32 v[246:247], v[246:247], v[238:239]
	;; [unrolled: 1-line block ×3, first 2 shown]
	s_mov_b32 s44, s29
	v_pk_mul_f32 v[238:239], v[250:251], s[28:29] op_sel_hi:[1,0]
	v_pk_add_f32 v[172:173], v[130:131], v[136:137] neg_lo:[0,1] neg_hi:[0,1]
	v_pk_fma_f32 v[120:121], v[248:249], s[44:45], v[238:239] op_sel:[0,0,1] op_sel_hi:[1,0,0]
	v_pk_fma_f32 v[238:239], v[248:249], s[44:45], v[238:239] op_sel:[0,0,1] op_sel_hi:[1,0,0] neg_lo:[0,0,1] neg_hi:[0,0,1]
	v_pk_add_f32 v[254:255], v[136:137], v[130:131]
	v_pk_mul_f32 v[136:137], v[172:173], s[42:43] op_sel_hi:[1,0]
	v_mov_b32_e32 v252, v120
	v_mov_b32_e32 v253, v239
	v_pk_fma_f32 v[240:241], v[254:255], s[0:1], v[136:137] op_sel:[0,0,1] op_sel_hi:[1,0,0]
	v_pk_fma_f32 v[136:137], v[254:255], s[0:1], v[136:137] op_sel:[0,0,1] op_sel_hi:[1,0,0] neg_lo:[0,0,1] neg_hi:[0,0,1]
	v_pk_add_f32 v[252:253], v[118:119], v[252:253]
	v_mov_b32_e32 v130, v240
	v_mov_b32_e32 v131, v137
	v_pk_add_f32 v[242:243], v[132:133], v[134:135] neg_lo:[0,1] neg_hi:[0,1]
	v_pk_add_f32 v[130:131], v[130:131], v[252:253]
	v_pk_add_f32 v[252:253], v[134:135], v[132:133]
	s_mov_b32 s46, s23
	v_pk_mul_f32 v[134:135], v[242:243], s[22:23] op_sel_hi:[1,0]
	s_mov_b32 s48, s27
	v_pk_fma_f32 v[244:245], v[252:253], s[46:47], v[134:135] op_sel:[0,0,1] op_sel_hi:[1,0,0]
	v_pk_fma_f32 v[134:135], v[252:253], s[46:47], v[134:135] op_sel:[0,0,1] op_sel_hi:[1,0,0] neg_lo:[0,0,1] neg_hi:[0,0,1]
	v_mov_b32_e32 v132, v244
	v_mov_b32_e32 v133, v135
	v_pk_add_f32 v[130:131], v[132:133], v[130:131]
	v_pk_add_f32 v[132:133], v[128:129], v[122:123]
	v_pk_add_f32 v[122:123], v[122:123], v[128:129] neg_lo:[0,1] neg_hi:[0,1]
	s_mov_b32 s50, s31
	v_pk_mul_f32 v[128:129], v[122:123], s[26:27] op_sel_hi:[1,0]
	s_nop 0
	v_pk_fma_f32 v[148:149], v[132:133], s[48:49], v[128:129] op_sel:[0,0,1] op_sel_hi:[1,0,0]
	v_pk_fma_f32 v[128:129], v[132:133], s[48:49], v[128:129] op_sel:[0,0,1] op_sel_hi:[1,0,0] neg_lo:[0,0,1] neg_hi:[0,0,1]
	v_mov_b32_e32 v146, v148
	v_mov_b32_e32 v147, v129
	v_pk_add_f32 v[130:131], v[146:147], v[130:131]
	v_pk_add_f32 v[146:147], v[126:127], v[124:125]
	v_pk_add_f32 v[124:125], v[124:125], v[126:127] neg_lo:[0,1] neg_hi:[0,1]
	; wave barrier
	s_nop 0
	v_pk_mul_f32 v[126:127], v[124:125], s[30:31] op_sel_hi:[1,0]
	v_pk_mul_f32 v[156:157], v[172:173], s[26:27] op_sel_hi:[1,0]
	v_pk_fma_f32 v[154:155], v[146:147], s[50:51], v[126:127] op_sel:[0,0,1] op_sel_hi:[1,0,0]
	v_pk_fma_f32 v[126:127], v[146:147], s[50:51], v[126:127] op_sel:[0,0,1] op_sel_hi:[1,0,0] neg_lo:[0,0,1] neg_hi:[0,0,1]
	v_mov_b32_e32 v150, v154
	v_mov_b32_e32 v151, v127
	v_pk_add_f32 v[130:131], v[150:151], v[130:131]
	ds_write2_b64 v143, v[246:247], v[130:131] offset1:1
	v_pk_mul_f32 v[130:131], v[250:251], s[42:43] op_sel_hi:[1,0]
	v_pk_fma_f32 v[160:161], v[254:255], s[48:49], v[156:157] op_sel:[0,0,1] op_sel_hi:[1,0,0]
	v_pk_fma_f32 v[150:151], v[248:249], s[0:1], v[130:131] op_sel:[0,0,1] op_sel_hi:[1,0,0]
	v_pk_fma_f32 v[130:131], v[248:249], s[0:1], v[130:131] op_sel:[0,0,1] op_sel_hi:[1,0,0] neg_lo:[0,0,1] neg_hi:[0,0,1]
	v_mov_b32_e32 v246, v150
	v_mov_b32_e32 v247, v131
	v_pk_fma_f32 v[156:157], v[254:255], s[48:49], v[156:157] op_sel:[0,0,1] op_sel_hi:[1,0,0] neg_lo:[0,0,1] neg_hi:[0,0,1]
	v_pk_add_f32 v[246:247], v[118:119], v[246:247]
	v_mov_b32_e32 v158, v160
	v_mov_b32_e32 v159, v157
	v_pk_add_f32 v[158:159], v[158:159], v[246:247]
	v_pk_mul_f32 v[246:247], v[242:243], s[40:41] op_sel_hi:[1,0]
	v_mov_b64_e32 v[234:235], v[138:139]
	v_pk_fma_f32 v[166:167], v[252:253], s[50:51], v[246:247] op_sel:[0,0,1] op_sel_hi:[1,0,0]
	v_pk_fma_f32 v[246:247], v[252:253], s[50:51], v[246:247] op_sel:[0,0,1] op_sel_hi:[1,0,0] neg_lo:[0,0,1] neg_hi:[0,0,1]
	v_mov_b32_e32 v164, v166
	v_mov_b32_e32 v165, v247
	v_pk_add_f32 v[158:159], v[164:165], v[158:159]
	v_pk_mul_f32 v[164:165], v[122:123], s[38:39] op_sel_hi:[1,0]
	s_mov_b32 s42, 0x3f68dda4
	v_pk_fma_f32 v[170:171], v[132:133], s[46:47], v[164:165] op_sel:[0,0,1] op_sel_hi:[1,0,0]
	v_pk_fma_f32 v[164:165], v[132:133], s[46:47], v[164:165] op_sel:[0,0,1] op_sel_hi:[1,0,0] neg_lo:[0,0,1] neg_hi:[0,0,1]
	v_mov_b32_e32 v168, v170
	v_mov_b32_e32 v169, v165
	v_pk_add_f32 v[158:159], v[168:169], v[158:159]
	v_pk_mul_f32 v[168:169], v[124:125], s[36:37] op_sel_hi:[1,0]
	v_accvgpr_write_b32 a73, v3
	v_pk_fma_f32 v[144:145], v[146:147], s[44:45], v[168:169] op_sel:[0,0,1] op_sel_hi:[1,0,0]
	v_pk_fma_f32 v[168:169], v[146:147], s[44:45], v[168:169] op_sel:[0,0,1] op_sel_hi:[1,0,0] neg_lo:[0,0,1] neg_hi:[0,0,1]
	v_mov_b32_e32 v138, v144
	v_mov_b32_e32 v139, v169
	v_pk_add_f32 v[138:139], v[138:139], v[158:159]
	v_pk_mul_f32 v[158:159], v[250:251], s[22:23] op_sel_hi:[1,0]
	v_accvgpr_write_b32 a75, v1
	v_pk_fma_f32 v[16:17], v[248:249], s[46:47], v[158:159] op_sel:[0,0,1] op_sel_hi:[1,0,0]
	v_pk_fma_f32 v[158:159], v[248:249], s[46:47], v[158:159] op_sel:[0,0,1] op_sel_hi:[1,0,0] neg_lo:[0,0,1] neg_hi:[0,0,1]
	v_mov_b32_e32 v162, v16
	v_mov_b32_e32 v163, v159
	v_pk_add_f32 v[18:19], v[118:119], v[162:163]
	v_pk_mul_f32 v[162:163], v[172:173], s[40:41] op_sel_hi:[1,0]
	v_accvgpr_write_b32 a72, v2
	v_pk_fma_f32 v[178:179], v[254:255], s[50:51], v[162:163] op_sel:[0,0,1] op_sel_hi:[1,0,0]
	v_pk_fma_f32 v[162:163], v[254:255], s[50:51], v[162:163] op_sel:[0,0,1] op_sel_hi:[1,0,0] neg_lo:[0,0,1] neg_hi:[0,0,1]
	v_mov_b32_e32 v152, v178
	v_mov_b32_e32 v153, v163
	v_pk_add_f32 v[18:19], v[152:153], v[18:19]
	v_pk_mul_f32 v[152:153], v[242:243], s[42:43] op_sel_hi:[1,0]
	v_accvgpr_write_b32 a74, v0
	v_pk_fma_f32 v[0:1], v[252:253], s[0:1], v[152:153] op_sel:[0,0,1] op_sel_hi:[1,0,0]
	v_pk_fma_f32 v[2:3], v[252:253], s[0:1], v[152:153] op_sel:[0,0,1] op_sel_hi:[1,0,0] neg_lo:[0,0,1] neg_hi:[0,0,1]
	v_mov_b32_e32 v152, v0
	v_mov_b32_e32 v153, v3
	v_pk_add_f32 v[18:19], v[152:153], v[18:19]
	v_pk_mul_f32 v[152:153], v[122:123], s[28:29] op_sel_hi:[1,0]
	v_pk_mul_f32 v[200:201], v[172:173], s[38:39] op_sel_hi:[1,0]
	v_pk_fma_f32 v[4:5], v[132:133], s[44:45], v[152:153] op_sel:[0,0,1] op_sel_hi:[1,0,0]
	v_pk_fma_f32 v[6:7], v[132:133], s[44:45], v[152:153] op_sel:[0,0,1] op_sel_hi:[1,0,0] neg_lo:[0,0,1] neg_hi:[0,0,1]
	v_mov_b32_e32 v152, v4
	v_mov_b32_e32 v153, v7
	v_pk_add_f32 v[18:19], v[152:153], v[18:19]
	v_pk_mul_f32 v[152:153], v[124:125], s[26:27] op_sel_hi:[1,0]
	v_pk_fma_f32 v[208:209], v[254:255], s[46:47], v[200:201] op_sel:[0,0,1] op_sel_hi:[1,0,0]
	v_pk_fma_f32 v[108:109], v[146:147], s[48:49], v[152:153] op_sel:[0,0,1] op_sel_hi:[1,0,0]
	v_pk_fma_f32 v[152:153], v[146:147], s[48:49], v[152:153] op_sel:[0,0,1] op_sel_hi:[1,0,0] neg_lo:[0,0,1] neg_hi:[0,0,1]
	v_mov_b32_e32 v176, v108
	v_mov_b32_e32 v177, v153
	v_pk_add_f32 v[18:19], v[176:177], v[18:19]
	ds_write2_b64 v143, v[138:139], v[18:19] offset0:2 offset1:3
	v_pk_mul_f32 v[18:19], v[250:251], s[26:27] op_sel_hi:[1,0]
	v_pk_fma_f32 v[200:201], v[254:255], s[46:47], v[200:201] op_sel:[0,0,1] op_sel_hi:[1,0,0] neg_lo:[0,0,1] neg_hi:[0,0,1]
	v_pk_fma_f32 v[138:139], v[248:249], s[48:49], v[18:19] op_sel:[0,0,1] op_sel_hi:[1,0,0]
	v_pk_fma_f32 v[18:19], v[248:249], s[48:49], v[18:19] op_sel:[0,0,1] op_sel_hi:[1,0,0] neg_lo:[0,0,1] neg_hi:[0,0,1]
	v_mov_b32_e32 v176, v138
	v_mov_b32_e32 v177, v19
	v_pk_add_f32 v[176:177], v[118:119], v[176:177]
	v_mov_b32_e32 v202, v208
	v_mov_b32_e32 v203, v201
	v_pk_add_f32 v[176:177], v[202:203], v[176:177]
	v_pk_mul_f32 v[202:203], v[242:243], s[28:29] op_sel_hi:[1,0]
	v_pk_mul_f32 v[172:173], v[172:173], s[36:37] op_sel_hi:[1,0]
	v_pk_fma_f32 v[214:215], v[252:253], s[44:45], v[202:203] op_sel:[0,0,1] op_sel_hi:[1,0,0]
	v_pk_fma_f32 v[202:203], v[252:253], s[44:45], v[202:203] op_sel:[0,0,1] op_sel_hi:[1,0,0] neg_lo:[0,0,1] neg_hi:[0,0,1]
	v_mov_b32_e32 v210, v214
	v_mov_b32_e32 v211, v203
	v_pk_add_f32 v[176:177], v[210:211], v[176:177]
	v_pk_mul_f32 v[210:211], v[122:123], s[30:31] op_sel_hi:[1,0]
	v_pk_fma_f32 v[230:231], v[254:255], s[44:45], v[172:173] op_sel:[0,0,1] op_sel_hi:[1,0,0]
	v_pk_fma_f32 v[220:221], v[132:133], s[50:51], v[210:211] op_sel:[0,0,1] op_sel_hi:[1,0,0]
	v_pk_fma_f32 v[210:211], v[132:133], s[50:51], v[210:211] op_sel:[0,0,1] op_sel_hi:[1,0,0] neg_lo:[0,0,1] neg_hi:[0,0,1]
	v_mov_b32_e32 v174, v220
	v_mov_b32_e32 v175, v211
	v_pk_add_f32 v[174:175], v[174:175], v[176:177]
	v_pk_mul_f32 v[176:177], v[124:125], s[42:43] op_sel_hi:[1,0]
	v_pk_fma_f32 v[172:173], v[254:255], s[44:45], v[172:173] op_sel:[0,0,1] op_sel_hi:[1,0,0] neg_lo:[0,0,1] neg_hi:[0,0,1]
	v_pk_fma_f32 v[226:227], v[146:147], s[0:1], v[176:177] op_sel:[0,0,1] op_sel_hi:[1,0,0]
	v_pk_fma_f32 v[176:177], v[146:147], s[0:1], v[176:177] op_sel:[0,0,1] op_sel_hi:[1,0,0] neg_lo:[0,0,1] neg_hi:[0,0,1]
	v_mov_b32_e32 v222, v226
	v_mov_b32_e32 v223, v177
	v_pk_add_f32 v[174:175], v[222:223], v[174:175]
	v_pk_mul_f32 v[222:223], v[250:251], s[30:31] op_sel_hi:[1,0]
	v_mov_b32_e32 v254, v230
	v_pk_fma_f32 v[250:251], v[248:249], s[50:51], v[222:223] op_sel:[0,0,1] op_sel_hi:[1,0,0]
	v_pk_fma_f32 v[222:223], v[248:249], s[50:51], v[222:223] op_sel:[0,0,1] op_sel_hi:[1,0,0] neg_lo:[0,0,1] neg_hi:[0,0,1]
	v_mov_b32_e32 v248, v250
	v_mov_b32_e32 v249, v223
	v_pk_add_f32 v[248:249], v[118:119], v[248:249]
	v_mov_b32_e32 v255, v173
	v_pk_mul_f32 v[242:243], v[242:243], s[26:27] op_sel_hi:[1,0]
	v_mov_b32_e32 v159, v17
	v_pk_add_f32 v[248:249], v[254:255], v[248:249]
	v_pk_fma_f32 v[254:255], v[252:253], s[48:49], v[242:243] op_sel:[0,0,1] op_sel_hi:[1,0,0]
	v_pk_fma_f32 v[242:243], v[252:253], s[48:49], v[242:243] op_sel:[0,0,1] op_sel_hi:[1,0,0] neg_lo:[0,0,1] neg_hi:[0,0,1]
	v_pk_add_f32 v[16:17], v[118:119], v[158:159]
	v_mov_b32_e32 v163, v179
	v_mov_b32_e32 v252, v254
	;; [unrolled: 1-line block ×3, first 2 shown]
	v_pk_mul_f32 v[122:123], v[122:123], s[42:43] op_sel_hi:[1,0]
	v_pk_add_f32 v[16:17], v[162:163], v[16:17]
	v_mov_b32_e32 v3, v1
	v_mov_b32_e32 v131, v151
	v_pk_add_f32 v[248:249], v[252:253], v[248:249]
	v_pk_fma_f32 v[252:253], v[132:133], s[0:1], v[122:123] op_sel:[0,0,1] op_sel_hi:[1,0,0]
	v_pk_fma_f32 v[122:123], v[132:133], s[0:1], v[122:123] op_sel:[0,0,1] op_sel_hi:[1,0,0] neg_lo:[0,0,1] neg_hi:[0,0,1]
	v_pk_add_f32 v[0:1], v[2:3], v[16:17]
	v_pk_add_f32 v[2:3], v[118:119], v[130:131]
	v_mov_b32_e32 v157, v161
	v_mov_b32_e32 v132, v252
	;; [unrolled: 1-line block ×3, first 2 shown]
	v_pk_mul_f32 v[124:125], v[124:125], s[22:23] op_sel_hi:[1,0]
	v_pk_add_f32 v[2:3], v[156:157], v[2:3]
	v_mov_b32_e32 v247, v167
	v_pk_add_f32 v[132:133], v[132:133], v[248:249]
	v_pk_fma_f32 v[248:249], v[146:147], s[46:47], v[124:125] op_sel:[0,0,1] op_sel_hi:[1,0,0]
	v_pk_fma_f32 v[124:125], v[146:147], s[46:47], v[124:125] op_sel:[0,0,1] op_sel_hi:[1,0,0] neg_lo:[0,0,1] neg_hi:[0,0,1]
	v_mov_b32_e32 v7, v5
	v_pk_add_f32 v[2:3], v[246:247], v[2:3]
	v_mov_b32_e32 v165, v171
	v_mov_b32_e32 v146, v248
	v_mov_b32_e32 v147, v125
	v_pk_add_f32 v[0:1], v[6:7], v[0:1]
	v_mov_b32_e32 v153, v109
	v_pk_add_f32 v[2:3], v[164:165], v[2:3]
	v_mov_b32_e32 v169, v145
	;; [unrolled: 2-line block ×3, first 2 shown]
	v_mov_b32_e32 v19, v139
	v_pk_add_f32 v[0:1], v[152:153], v[0:1]
	v_pk_add_f32 v[2:3], v[168:169], v[2:3]
	v_mov_b32_e32 v239, v121
	ds_write2_b64 v143, v[174:175], v[132:133] offset0:4 offset1:5
	v_pk_add_f32 v[132:133], v[118:119], v[222:223]
	v_mov_b32_e32 v173, v231
	v_pk_add_f32 v[18:19], v[118:119], v[18:19]
	v_mov_b32_e32 v201, v209
	ds_write2_b64 v143, v[0:1], v[2:3] offset0:8 offset1:9
	v_pk_add_f32 v[0:1], v[118:119], v[238:239]
	v_mov_b32_e32 v137, v241
	v_pk_add_f32 v[132:133], v[172:173], v[132:133]
	v_mov_b32_e32 v243, v255
	;; [unrolled: 2-line block ×9, first 2 shown]
	v_accvgpr_read_b32 v159, a75
	v_accvgpr_read_b32 v157, a73
	v_pk_add_f32 v[0:1], v[128:129], v[0:1]
	v_mov_b32_e32 v127, v155
	v_pk_add_f32 v[122:123], v[124:125], v[122:123]
	v_pk_add_f32 v[18:19], v[176:177], v[18:19]
	v_accvgpr_read_b32 v158, a74
	v_accvgpr_read_b32 v156, a72
	v_pk_add_f32 v[0:1], v[126:127], v[0:1]
	ds_write2_b64 v143, v[122:123], v[18:19] offset0:6 offset1:7
	ds_write_b64 v143, v[0:1] offset:80
	s_and_saveexec_b64 s[44:45], s[4:5]
	s_cbranch_execz .LBB0_17
; %bb.16:
	v_accvgpr_read_b32 v125, a53
	v_pk_mul_f32 v[0:1], v[140:141], s[0:1]
	v_accvgpr_read_b32 v124, a52
	v_pk_add_f32 v[0:1], v[124:125], v[0:1] neg_lo:[0,1] neg_hi:[0,1]
	v_pk_mul_f32 v[2:3], v[140:141], s[6:7]
	v_accvgpr_read_b32 v0, a19
	v_mov_b32_e32 v199, v1
	v_lshlrev_b32_e32 v20, 3, v0
	v_pk_add_f32 v[0:1], v[98:99], v[96:97]
	v_accvgpr_read_b32 v99, a55
	v_accvgpr_read_b32 v98, a54
	v_pk_add_f32 v[2:3], v[98:99], v[2:3] neg_lo:[0,1] neg_hi:[0,1]
	v_accvgpr_read_b32 v99, a57
	v_pk_mul_f32 v[4:5], v[180:181], s[0:1]
	v_accvgpr_read_b32 v98, a56
	v_pk_add_f32 v[4:5], v[98:99], v[4:5] neg_lo:[0,1] neg_hi:[0,1]
	v_pk_mul_f32 v[6:7], v[182:183], s[16:17]
	v_mov_b32_e32 v207, v5
	v_accvgpr_read_b32 v4, a58
	v_accvgpr_read_b32 v5, a59
	v_pk_add_f32 v[0:1], v[100:101], v[0:1]
	v_pk_add_f32 v[4:5], v[4:5], v[6:7] neg_lo:[0,1] neg_hi:[0,1]
	v_pk_add_f32 v[0:1], v[102:103], v[0:1]
	v_mov_b32_e32 v213, v5
	v_accvgpr_read_b32 v4, a60
	v_pk_mul_f32 v[16:17], v[184:185], s[12:13]
	v_pk_add_f32 v[0:1], v[104:105], v[0:1]
	v_accvgpr_read_b32 v5, a61
	v_pk_add_f32 v[0:1], v[106:107], v[0:1]
	v_mov_b32_e32 v205, v3
	v_pk_add_f32 v[4:5], v[4:5], v[16:17] neg_lo:[0,1] neg_hi:[0,1]
	v_pk_add_f32 v[0:1], v[110:111], v[0:1]
	v_pk_add_f32 v[2:3], v[96:97], v[204:205]
	v_mov_b32_e32 v217, v5
	v_accvgpr_read_b32 v4, a64
	v_pk_mul_f32 v[18:19], v[186:187], s[18:19]
	v_pk_add_f32 v[0:1], v[112:113], v[0:1]
	v_pk_add_f32 v[2:3], v[206:207], v[2:3]
	v_accvgpr_read_b32 v5, a65
	v_pk_add_f32 v[0:1], v[114:115], v[0:1]
	v_pk_add_f32 v[2:3], v[212:213], v[2:3]
	v_pk_add_f32 v[4:5], v[4:5], v[18:19] neg_lo:[0,1] neg_hi:[0,1]
	v_pk_add_f32 v[0:1], v[116:117], v[0:1]
	v_pk_add_f32 v[2:3], v[216:217], v[2:3]
	v_mov_b32_e32 v225, v5
	v_pk_add_f32 v[0:1], v[234:235], v[0:1]
	v_pk_add_f32 v[2:3], v[224:225], v[2:3]
	ds_write2_b64 v20, v[0:1], v[2:3] offset1:1
	v_accvgpr_read_b32 v2, a62
	v_pk_mul_f32 v[108:109], v[180:181], s[12:13]
	v_accvgpr_read_b32 v3, a63
	v_pk_add_f32 v[2:3], v[2:3], v[108:109] neg_lo:[0,1] neg_hi:[0,1]
	v_pk_mul_f32 v[118:119], v[182:183], s[20:21]
	v_mov_b32_e32 v219, v3
	v_accvgpr_read_b32 v2, a66
	v_accvgpr_read_b32 v3, a67
	v_pk_add_f32 v[2:3], v[2:3], v[118:119] neg_lo:[0,1] neg_hi:[0,1]
	v_pk_mul_f32 v[120:121], v[184:185], s[24:25]
	v_mov_b32_e32 v229, v3
	v_accvgpr_read_b32 v2, a68
	;; [unrolled: 5-line block ×3, first 2 shown]
	v_accvgpr_read_b32 v3, a71
	v_pk_add_f32 v[2:3], v[2:3], v[122:123] neg_lo:[0,1] neg_hi:[0,1]
	v_pk_mul_f32 v[16:17], v[196:197], s[40:41]
	v_mov_b32_e32 v237, v3
	v_pk_mul_f32 v[2:3], v[188:189], s[22:23]
	v_pk_fma_f32 v[18:19], v[180:181], s[20:21], v[16:17]
	v_pk_fma_f32 v[4:5], v[140:141], s[16:17], v[2:3]
	v_pk_fma_f32 v[6:7], v[140:141], s[16:17], v[2:3] neg_lo:[1,0,0] neg_hi:[1,0,0]
	v_pk_fma_f32 v[98:99], v[180:181], s[20:21], v[16:17] neg_lo:[1,0,0] neg_hi:[1,0,0]
	v_mov_b32_e32 v6, v4
	v_pk_add_f32 v[6:7], v[96:97], v[6:7]
	v_mov_b32_e32 v98, v18
	s_mov_b32 s43, s0
	v_pk_add_f32 v[6:7], v[98:99], v[6:7]
	s_mov_b32 s1, s42
	v_pk_mul_f32 v[98:99], v[194:195], s[42:43]
	v_pk_add_f32 v[0:1], v[96:97], v[198:199]
	v_pk_fma_f32 v[100:101], v[182:183], s[0:1], v[98:99]
	v_pk_fma_f32 v[102:103], v[182:183], s[0:1], v[98:99] neg_lo:[1,0,0] neg_hi:[1,0,0]
	v_pk_add_f32 v[0:1], v[218:219], v[0:1]
	v_mov_b32_e32 v102, v100
	v_pk_add_f32 v[6:7], v[102:103], v[6:7]
	v_pk_mul_f32 v[102:103], v[192:193], s[28:29]
	v_pk_add_f32 v[0:1], v[228:229], v[0:1]
	v_pk_fma_f32 v[104:105], v[184:185], s[6:7], v[102:103]
	v_pk_fma_f32 v[106:107], v[184:185], s[6:7], v[102:103] neg_lo:[1,0,0] neg_hi:[1,0,0]
	v_pk_add_f32 v[0:1], v[232:233], v[0:1]
	v_mov_b32_e32 v106, v104
	v_pk_add_f32 v[6:7], v[106:107], v[6:7]
	v_pk_mul_f32 v[106:107], v[190:191], s[26:27]
	v_pk_add_f32 v[0:1], v[236:237], v[0:1]
	v_pk_fma_f32 v[108:109], v[186:187], s[12:13], v[106:107]
	v_pk_fma_f32 v[110:111], v[186:187], s[12:13], v[106:107] neg_lo:[1,0,0] neg_hi:[1,0,0]
	v_pk_mul_f32 v[112:113], v[192:193], s[30:31]
	v_mov_b32_e32 v110, v108
	v_pk_add_f32 v[6:7], v[110:111], v[6:7]
	ds_write2_b64 v20, v[0:1], v[6:7] offset0:2 offset1:3
	v_pk_mul_f32 v[0:1], v[188:189], s[26:27]
	v_pk_mul_f32 v[6:7], v[196:197], s[38:39]
	v_pk_fma_f32 v[116:117], v[140:141], s[12:13], v[0:1]
	v_pk_fma_f32 v[118:119], v[140:141], s[12:13], v[0:1] neg_lo:[1,0,0] neg_hi:[1,0,0]
	v_pk_fma_f32 v[120:121], v[180:181], s[24:25], v[6:7]
	v_mov_b32_e32 v118, v116
	v_pk_fma_f32 v[122:123], v[180:181], s[24:25], v[6:7] neg_lo:[1,0,0] neg_hi:[1,0,0]
	v_pk_mul_f32 v[110:111], v[194:195], s[28:29]
	v_pk_add_f32 v[118:119], v[96:97], v[118:119]
	v_mov_b32_e32 v122, v120
	v_pk_add_f32 v[118:119], v[122:123], v[118:119]
	v_pk_fma_f32 v[122:123], v[182:183], s[6:7], v[110:111]
	v_pk_fma_f32 v[124:125], v[182:183], s[6:7], v[110:111] neg_lo:[1,0,0] neg_hi:[1,0,0]
	v_pk_fma_f32 v[126:127], v[184:185], s[18:19], v[112:113] neg_lo:[1,0,0] neg_hi:[1,0,0]
	v_mov_b32_e32 v124, v122
	v_pk_add_f32 v[118:119], v[124:125], v[118:119]
	v_pk_fma_f32 v[124:125], v[184:185], s[18:19], v[112:113]
	v_pk_mul_f32 v[114:115], v[190:191], s[42:43]
	v_mov_b32_e32 v126, v124
	v_pk_add_f32 v[118:119], v[126:127], v[118:119]
	v_pk_fma_f32 v[126:127], v[186:187], s[0:1], v[114:115]
	v_pk_fma_f32 v[128:129], v[186:187], s[0:1], v[114:115] neg_lo:[1,0,0] neg_hi:[1,0,0]
	v_pk_mul_f32 v[134:135], v[196:197], s[36:37]
	v_mov_b32_e32 v128, v126
	v_pk_add_f32 v[118:119], v[128:129], v[118:119]
	v_pk_mul_f32 v[128:129], v[188:189], s[30:31]
	v_pk_fma_f32 v[136:137], v[180:181], s[34:35], v[134:135]
	v_pk_fma_f32 v[130:131], v[140:141], s[18:19], v[128:129]
	v_pk_fma_f32 v[132:133], v[140:141], s[18:19], v[128:129] neg_lo:[1,0,0] neg_hi:[1,0,0]
	v_pk_fma_f32 v[138:139], v[180:181], s[34:35], v[134:135] neg_lo:[1,0,0] neg_hi:[1,0,0]
	v_mov_b32_e32 v132, v130
	v_pk_add_f32 v[132:133], v[96:97], v[132:133]
	v_mov_b32_e32 v138, v136
	v_pk_add_f32 v[132:133], v[138:139], v[132:133]
	v_pk_mul_f32 v[138:139], v[194:195], s[26:27]
	v_pk_fma_f32 v[0:1], v[140:141], s[12:13], v[0:1] neg_lo:[0,0,1] neg_hi:[0,0,1]
	v_pk_fma_f32 v[144:145], v[182:183], s[12:13], v[138:139]
	v_pk_fma_f32 v[146:147], v[182:183], s[12:13], v[138:139] neg_lo:[1,0,0] neg_hi:[1,0,0]
	v_mov_b32_e32 v1, v117
	v_mov_b32_e32 v146, v144
	v_pk_add_f32 v[132:133], v[146:147], v[132:133]
	v_pk_mul_f32 v[146:147], v[192:193], s[42:43]
	v_pk_fma_f32 v[6:7], v[180:181], s[24:25], v[6:7] neg_lo:[0,0,1] neg_hi:[0,0,1]
	v_pk_fma_f32 v[148:149], v[184:185], s[0:1], v[146:147]
	v_pk_fma_f32 v[150:151], v[184:185], s[0:1], v[146:147] neg_lo:[1,0,0] neg_hi:[1,0,0]
	v_pk_add_f32 v[0:1], v[96:97], v[0:1]
	v_mov_b32_e32 v150, v148
	v_pk_add_f32 v[132:133], v[150:151], v[132:133]
	v_pk_mul_f32 v[150:151], v[190:191], s[22:23]
	v_mov_b32_e32 v7, v121
	v_pk_fma_f32 v[152:153], v[186:187], s[16:17], v[150:151]
	v_pk_fma_f32 v[154:155], v[186:187], s[16:17], v[150:151] neg_lo:[1,0,0] neg_hi:[1,0,0]
	v_pk_add_f32 v[0:1], v[6:7], v[0:1]
	v_mov_b32_e32 v154, v152
	v_pk_add_f32 v[132:133], v[154:155], v[132:133]
	ds_write2_b64 v20, v[118:119], v[132:133] offset0:4 offset1:5
	v_pk_fma_f32 v[118:119], v[140:141], s[18:19], v[128:129] neg_lo:[0,0,1] neg_hi:[0,0,1]
	v_pk_fma_f32 v[128:129], v[180:181], s[34:35], v[134:135] neg_lo:[0,0,1] neg_hi:[0,0,1]
	v_mov_b32_e32 v119, v131
	v_pk_add_f32 v[118:119], v[96:97], v[118:119]
	v_mov_b32_e32 v129, v137
	v_pk_add_f32 v[118:119], v[128:129], v[118:119]
	v_pk_fma_f32 v[128:129], v[182:183], s[12:13], v[138:139] neg_lo:[0,0,1] neg_hi:[0,0,1]
	v_pk_fma_f32 v[6:7], v[182:183], s[6:7], v[110:111] neg_lo:[0,0,1] neg_hi:[0,0,1]
	v_mov_b32_e32 v129, v145
	v_mov_b32_e32 v7, v123
	v_pk_add_f32 v[118:119], v[128:129], v[118:119]
	v_pk_fma_f32 v[128:129], v[184:185], s[0:1], v[146:147] neg_lo:[0,0,1] neg_hi:[0,0,1]
	v_pk_add_f32 v[0:1], v[6:7], v[0:1]
	v_pk_fma_f32 v[6:7], v[184:185], s[18:19], v[112:113] neg_lo:[0,0,1] neg_hi:[0,0,1]
	v_mov_b32_e32 v129, v149
	v_mov_b32_e32 v7, v125
	v_pk_add_f32 v[118:119], v[128:129], v[118:119]
	v_pk_fma_f32 v[128:129], v[186:187], s[16:17], v[150:151] neg_lo:[0,0,1] neg_hi:[0,0,1]
	v_pk_add_f32 v[0:1], v[6:7], v[0:1]
	v_pk_fma_f32 v[6:7], v[186:187], s[0:1], v[114:115] neg_lo:[0,0,1] neg_hi:[0,0,1]
	v_mov_b32_e32 v129, v153
	v_mov_b32_e32 v7, v127
	v_pk_add_f32 v[118:119], v[128:129], v[118:119]
	v_pk_add_f32 v[0:1], v[6:7], v[0:1]
	ds_write2_b64 v20, v[118:119], v[0:1] offset0:6 offset1:7
	v_pk_fma_f32 v[0:1], v[140:141], s[16:17], v[2:3] neg_lo:[0,0,1] neg_hi:[0,0,1]
	v_pk_fma_f32 v[2:3], v[180:181], s[20:21], v[16:17] neg_lo:[0,0,1] neg_hi:[0,0,1]
	v_mov_b32_e32 v1, v5
	v_pk_add_f32 v[0:1], v[96:97], v[0:1]
	v_mov_b32_e32 v3, v19
	v_pk_add_f32 v[0:1], v[2:3], v[0:1]
	v_pk_fma_f32 v[2:3], v[182:183], s[0:1], v[98:99] neg_lo:[0,0,1] neg_hi:[0,0,1]
	s_nop 0
	v_mov_b32_e32 v3, v101
	v_pk_add_f32 v[0:1], v[2:3], v[0:1]
	v_pk_fma_f32 v[2:3], v[184:185], s[6:7], v[102:103] neg_lo:[0,0,1] neg_hi:[0,0,1]
	s_nop 0
	;; [unrolled: 4-line block ×3, first 2 shown]
	v_mov_b32_e32 v3, v109
	v_pk_add_f32 v[0:1], v[2:3], v[0:1]
	ds_write2_b64 v20, v[0:1], v[158:159] offset0:8 offset1:9
	ds_write_b64 v20, v[156:157] offset:80
.LBB0_17:
	s_or_b64 exec, exec, s[44:45]
	v_accvgpr_read_b32 v0, a42
	v_add_u32_e32 v0, 0x400, v142
	v_accvgpr_read_b32 v1, a43
	s_waitcnt lgkmcnt(0)
	; wave barrier
	s_waitcnt lgkmcnt(0)
	ds_read2_b64 v[138:141], v0 offset0:103 offset1:158
	v_add_u32_e32 v0, 0xc00, v142
	v_mov_b32_e32 v20, v1
	ds_read2_b64 v[134:137], v0 offset0:78 offset1:133
	v_add_u32_e32 v0, 0x1000, v142
	v_add_u32_e32 v1, 0x1800, v142
	;; [unrolled: 1-line block ×3, first 2 shown]
	ds_read2_b64 v[122:125], v142 offset1:55
	ds_read2_b64 v[130:133], v0 offset0:181 offset1:236
	ds_read2_b64 v[126:129], v1 offset0:156 offset1:211
	;; [unrolled: 1-line block ×6, first 2 shown]
	v_add_u32_e32 v0, 0x2000, v142
	ds_read2_b64 v[100:103], v0 offset0:10 offset1:65
	v_mov_b32_e32 v234, v36
	v_mov_b32_e32 v235, v36
	;; [unrolled: 1-line block ×48, first 2 shown]
	s_and_saveexec_b64 s[0:1], s[2:3]
	s_cbranch_execz .LBB0_19
; %bb.18:
	v_add_u32_e32 v0, 0x680, v142
	ds_read2_b64 v[154:157], v0 offset0:12 offset1:243
	v_add_u32_e32 v0, 0x1500, v142
	ds_read2_b64 a[38:41], v0 offset0:10 offset1:241
	ds_read_b64 a[36:37], v142 offset:9152
	s_waitcnt lgkmcnt(2)
	v_mov_b64_e32 v[158:159], v[154:155]
.LBB0_19:
	s_or_b64 exec, exec, s[0:1]
	s_waitcnt lgkmcnt(9)
	v_pk_mul_f32 v[0:1], v[36:37], v[138:139]
	s_waitcnt lgkmcnt(8)
	v_pk_mul_f32 v[2:3], v[38:39], v[134:135]
	;; [unrolled: 2-line block ×3, first 2 shown]
	v_pk_mul_f32 v[32:33], v[44:45], v[132:133]
	s_waitcnt lgkmcnt(1)
	v_pk_mul_f32 v[44:45], v[48:49], v[110:111]
	v_pk_mul_f32 v[48:49], v[52:53], v[120:121]
	v_pk_fma_f32 v[52:53], v[234:235], v[138:139], v[0:1] op_sel:[0,0,1] op_sel_hi:[1,1,0]
	v_pk_fma_f32 v[0:1], v[234:235], v[138:139], v[0:1] op_sel:[0,0,1] op_sel_hi:[1,1,0] neg_lo:[0,0,1] neg_hi:[0,0,1]
	v_pk_mul_f32 v[6:7], v[34:35], v[126:127]
	v_mov_b32_e32 v53, v1
	v_pk_fma_f32 v[0:1], v[232:233], v[134:135], v[2:3] op_sel:[0,0,1] op_sel_hi:[1,1,0]
	v_pk_fma_f32 v[2:3], v[232:233], v[134:135], v[2:3] op_sel:[0,0,1] op_sel_hi:[1,1,0] neg_lo:[0,0,1] neg_hi:[0,0,1]
	v_pk_mul_f32 v[16:17], v[56:57], v[140:141]
	v_mov_b32_e32 v1, v3
	;; [unrolled: 4-line block ×3, first 2 shown]
	v_pk_fma_f32 v[4:5], v[228:229], v[126:127], v[6:7] op_sel:[0,0,1] op_sel_hi:[1,1,0]
	v_pk_fma_f32 v[6:7], v[228:229], v[126:127], v[6:7] op_sel:[0,0,1] op_sel_hi:[1,1,0] neg_lo:[0,0,1] neg_hi:[0,0,1]
	s_waitcnt lgkmcnt(0)
	v_pk_mul_f32 v[46:47], v[50:51], v[100:101]
	v_mov_b32_e32 v5, v7
	v_pk_mul_f32 v[50:51], v[54:55], v[116:117]
	v_pk_add_f32 v[54:55], v[0:1], v[2:3]
	v_pk_add_f32 v[56:57], v[52:53], v[4:5] neg_lo:[0,1] neg_hi:[0,1]
	s_mov_b32 s0, 0x3f737871
	v_pk_mul_f32 v[18:19], v[58:59], v[136:137]
	v_pk_mul_f32 v[36:37], v[60:61], v[118:119]
	v_pk_fma_f32 v[54:55], v[54:55], 0.5, v[122:123] op_sel_hi:[1,0,1] neg_lo:[1,0,0] neg_hi:[1,0,0]
	v_pk_mul_f32 v[58:59], v[56:57], s[0:1] op_sel_hi:[1,0]
	v_pk_add_f32 v[60:61], v[0:1], v[2:3] neg_lo:[0,1] neg_hi:[0,1]
	s_mov_b32 s6, 0x3f167918
	v_pk_add_f32 v[108:109], v[52:53], v[0:1] neg_lo:[0,1] neg_hi:[0,1]
	v_pk_add_f32 v[126:127], v[4:5], v[2:3] neg_lo:[0,1] neg_hi:[0,1]
	v_pk_mul_f32 v[38:39], v[62:63], v[114:115]
	v_pk_add_f32 v[6:7], v[122:123], v[52:53]
	v_pk_mul_f32 v[62:63], v[60:61], s[6:7] op_sel_hi:[1,0]
	v_pk_add_f32 v[108:109], v[108:109], v[126:127]
	v_pk_add_f32 v[126:127], v[54:55], v[58:59] op_sel:[0,1] op_sel_hi:[1,0] neg_lo:[0,1] neg_hi:[0,1]
	v_pk_add_f32 v[54:55], v[54:55], v[58:59] op_sel:[0,1] op_sel_hi:[1,0]
	v_pk_add_f32 v[6:7], v[6:7], v[0:1]
	v_pk_add_f32 v[54:55], v[54:55], v[62:63] op_sel:[0,1] op_sel_hi:[1,0]
	v_pk_add_f32 v[58:59], v[126:127], v[62:63] op_sel:[0,1] op_sel_hi:[1,0] neg_lo:[0,1] neg_hi:[0,1]
	v_pk_add_f32 v[6:7], v[6:7], v[2:3]
	s_mov_b32 s12, 0x3e9e377a
	v_mov_b32_e32 v62, v58
	v_mov_b32_e32 v63, v55
	v_pk_add_f32 v[6:7], v[6:7], v[4:5]
	v_pk_fma_f32 v[62:63], v[108:109], s[12:13], v[62:63] op_sel_hi:[1,0,1]
	v_accvgpr_read_b32 v58, a44
	s_waitcnt lgkmcnt(0)
	; wave barrier
	ds_write2_b64 v58, v[6:7], v[62:63] offset1:11
	v_pk_add_f32 v[6:7], v[52:53], v[4:5]
	v_pk_add_f32 v[0:1], v[0:1], v[52:53] neg_lo:[0,1] neg_hi:[0,1]
	v_pk_add_f32 v[2:3], v[2:3], v[4:5] neg_lo:[0,1] neg_hi:[0,1]
	v_pk_fma_f32 v[6:7], v[6:7], 0.5, v[122:123] op_sel_hi:[1,0,1] neg_lo:[1,0,0] neg_hi:[1,0,0]
	v_pk_add_f32 v[0:1], v[0:1], v[2:3]
	v_pk_mul_f32 v[2:3], v[60:61], s[0:1] op_sel_hi:[1,0]
	v_pk_mul_f32 v[4:5], v[56:57], s[6:7] op_sel_hi:[1,0]
	v_pk_add_f32 v[52:53], v[6:7], v[2:3] op_sel:[0,1] op_sel_hi:[1,0]
	v_pk_add_f32 v[2:3], v[6:7], v[2:3] op_sel:[0,1] op_sel_hi:[1,0] neg_lo:[0,1] neg_hi:[0,1]
	v_mov_b32_e32 v55, v59
	v_pk_add_f32 v[2:3], v[2:3], v[4:5] op_sel:[0,1] op_sel_hi:[1,0]
	v_pk_add_f32 v[4:5], v[52:53], v[4:5] op_sel:[0,1] op_sel_hi:[1,0] neg_lo:[0,1] neg_hi:[0,1]
	v_mov_b32_e32 v7, v3
	v_mov_b32_e32 v6, v4
	;; [unrolled: 1-line block ×3, first 2 shown]
	v_pk_fma_f32 v[6:7], v[0:1], s[12:13], v[6:7] op_sel_hi:[1,0,1]
	v_pk_fma_f32 v[0:1], v[0:1], s[12:13], v[2:3] op_sel_hi:[1,0,1]
	ds_write2_b64 v58, v[6:7], v[0:1] offset0:22 offset1:33
	v_pk_fma_f32 v[0:1], v[108:109], s[12:13], v[54:55] op_sel_hi:[1,0,1]
	ds_write_b64 v58, v[0:1] offset:352
	v_pk_fma_f32 v[0:1], v[226:227], v[140:141], v[16:17] op_sel:[0,0,1] op_sel_hi:[1,1,0]
	v_pk_fma_f32 v[2:3], v[226:227], v[140:141], v[16:17] op_sel:[0,0,1] op_sel_hi:[1,1,0] neg_lo:[0,0,1] neg_hi:[0,0,1]
	v_pk_fma_f32 v[4:5], v[224:225], v[136:137], v[18:19] op_sel:[0,0,1] op_sel_hi:[1,1,0] neg_lo:[0,0,1] neg_hi:[0,0,1]
	v_mov_b32_e32 v1, v3
	v_pk_fma_f32 v[2:3], v[224:225], v[136:137], v[18:19] op_sel:[0,0,1] op_sel_hi:[1,1,0]
	v_pk_fma_f32 v[6:7], v[222:223], v[132:133], v[32:33] op_sel:[0,0,1] op_sel_hi:[1,1,0] neg_lo:[0,0,1] neg_hi:[0,0,1]
	v_mov_b32_e32 v3, v5
	v_pk_fma_f32 v[4:5], v[222:223], v[132:133], v[32:33] op_sel:[0,0,1] op_sel_hi:[1,1,0]
	;; [unrolled: 3-line block ×3, first 2 shown]
	v_pk_add_f32 v[18:19], v[2:3], v[4:5]
	v_mov_b32_e32 v7, v17
	v_pk_add_f32 v[32:33], v[0:1], v[6:7] neg_lo:[0,1] neg_hi:[0,1]
	v_pk_fma_f32 v[18:19], v[18:19], 0.5, v[124:125] op_sel_hi:[1,0,1] neg_lo:[1,0,0] neg_hi:[1,0,0]
	v_pk_mul_f32 v[34:35], v[32:33], s[0:1] op_sel_hi:[1,0]
	v_pk_add_f32 v[52:53], v[2:3], v[4:5] neg_lo:[0,1] neg_hi:[0,1]
	v_pk_add_f32 v[56:57], v[0:1], v[2:3] neg_lo:[0,1] neg_hi:[0,1]
	;; [unrolled: 1-line block ×3, first 2 shown]
	v_pk_add_f32 v[16:17], v[124:125], v[0:1]
	v_pk_mul_f32 v[54:55], v[52:53], s[6:7] op_sel_hi:[1,0]
	v_pk_add_f32 v[56:57], v[56:57], v[58:59]
	v_pk_add_f32 v[58:59], v[18:19], v[34:35] op_sel:[0,1] op_sel_hi:[1,0] neg_lo:[0,1] neg_hi:[0,1]
	v_pk_add_f32 v[18:19], v[18:19], v[34:35] op_sel:[0,1] op_sel_hi:[1,0]
	v_pk_add_f32 v[16:17], v[16:17], v[2:3]
	v_pk_add_f32 v[18:19], v[18:19], v[54:55] op_sel:[0,1] op_sel_hi:[1,0]
	v_pk_add_f32 v[34:35], v[58:59], v[54:55] op_sel:[0,1] op_sel_hi:[1,0] neg_lo:[0,1] neg_hi:[0,1]
	v_pk_add_f32 v[16:17], v[16:17], v[4:5]
	v_mov_b32_e32 v54, v34
	v_mov_b32_e32 v55, v19
	v_pk_add_f32 v[16:17], v[16:17], v[6:7]
	v_pk_fma_f32 v[54:55], v[56:57], s[12:13], v[54:55] op_sel_hi:[1,0,1]
	v_accvgpr_read_b32 v34, a45
	ds_write2_b64 v34, v[16:17], v[54:55] offset1:11
	v_pk_add_f32 v[16:17], v[0:1], v[6:7]
	v_pk_add_f32 v[0:1], v[2:3], v[0:1] neg_lo:[0,1] neg_hi:[0,1]
	v_pk_add_f32 v[2:3], v[4:5], v[6:7] neg_lo:[0,1] neg_hi:[0,1]
	v_pk_fma_f32 v[16:17], v[16:17], 0.5, v[124:125] op_sel_hi:[1,0,1] neg_lo:[1,0,0] neg_hi:[1,0,0]
	v_pk_add_f32 v[0:1], v[0:1], v[2:3]
	v_pk_mul_f32 v[2:3], v[52:53], s[0:1] op_sel_hi:[1,0]
	v_pk_mul_f32 v[4:5], v[32:33], s[6:7] op_sel_hi:[1,0]
	v_pk_add_f32 v[6:7], v[16:17], v[2:3] op_sel:[0,1] op_sel_hi:[1,0]
	v_pk_add_f32 v[2:3], v[16:17], v[2:3] op_sel:[0,1] op_sel_hi:[1,0] neg_lo:[0,1] neg_hi:[0,1]
	v_mov_b32_e32 v19, v35
	v_pk_add_f32 v[2:3], v[2:3], v[4:5] op_sel:[0,1] op_sel_hi:[1,0]
	v_pk_add_f32 v[4:5], v[6:7], v[4:5] op_sel:[0,1] op_sel_hi:[1,0] neg_lo:[0,1] neg_hi:[0,1]
	v_mov_b32_e32 v7, v3
	v_mov_b32_e32 v6, v4
	v_mov_b32_e32 v3, v5
	v_pk_fma_f32 v[6:7], v[0:1], s[12:13], v[6:7] op_sel_hi:[1,0,1]
	v_pk_fma_f32 v[0:1], v[0:1], s[12:13], v[2:3] op_sel_hi:[1,0,1]
	ds_write2_b64 v34, v[6:7], v[0:1] offset0:22 offset1:33
	v_pk_fma_f32 v[0:1], v[56:57], s[12:13], v[18:19] op_sel_hi:[1,0,1]
	ds_write_b64 v34, v[0:1] offset:352
	v_pk_fma_f32 v[0:1], v[218:219], v[118:119], v[36:37] op_sel:[0,0,1] op_sel_hi:[1,1,0]
	v_pk_fma_f32 v[2:3], v[218:219], v[118:119], v[36:37] op_sel:[0,0,1] op_sel_hi:[1,1,0] neg_lo:[0,0,1] neg_hi:[0,0,1]
	v_pk_fma_f32 v[4:5], v[216:217], v[114:115], v[38:39] op_sel:[0,0,1] op_sel_hi:[1,1,0] neg_lo:[0,0,1] neg_hi:[0,0,1]
	v_mov_b32_e32 v1, v3
	v_pk_fma_f32 v[2:3], v[216:217], v[114:115], v[38:39] op_sel:[0,0,1] op_sel_hi:[1,1,0]
	v_pk_fma_f32 v[6:7], v[214:215], v[110:111], v[44:45] op_sel:[0,0,1] op_sel_hi:[1,1,0] neg_lo:[0,0,1] neg_hi:[0,0,1]
	v_mov_b32_e32 v3, v5
	v_pk_fma_f32 v[4:5], v[214:215], v[110:111], v[44:45] op_sel:[0,0,1] op_sel_hi:[1,1,0]
	;; [unrolled: 3-line block ×3, first 2 shown]
	v_pk_add_f32 v[18:19], v[2:3], v[4:5]
	v_mov_b32_e32 v7, v17
	v_pk_add_f32 v[32:33], v[0:1], v[6:7] neg_lo:[0,1] neg_hi:[0,1]
	v_pk_fma_f32 v[18:19], v[18:19], 0.5, v[96:97] op_sel_hi:[1,0,1] neg_lo:[1,0,0] neg_hi:[1,0,0]
	v_pk_mul_f32 v[34:35], v[32:33], s[0:1] op_sel_hi:[1,0]
	v_pk_add_f32 v[36:37], v[2:3], v[4:5] neg_lo:[0,1] neg_hi:[0,1]
	v_pk_add_f32 v[44:45], v[0:1], v[2:3] neg_lo:[0,1] neg_hi:[0,1]
	;; [unrolled: 1-line block ×3, first 2 shown]
	v_pk_add_f32 v[16:17], v[96:97], v[0:1]
	v_pk_mul_f32 v[38:39], v[36:37], s[6:7] op_sel_hi:[1,0]
	v_pk_add_f32 v[44:45], v[44:45], v[46:47]
	v_pk_add_f32 v[46:47], v[18:19], v[34:35] op_sel:[0,1] op_sel_hi:[1,0] neg_lo:[0,1] neg_hi:[0,1]
	v_pk_add_f32 v[18:19], v[18:19], v[34:35] op_sel:[0,1] op_sel_hi:[1,0]
	v_pk_add_f32 v[16:17], v[16:17], v[2:3]
	v_pk_add_f32 v[18:19], v[18:19], v[38:39] op_sel:[0,1] op_sel_hi:[1,0]
	v_pk_add_f32 v[34:35], v[46:47], v[38:39] op_sel:[0,1] op_sel_hi:[1,0] neg_lo:[0,1] neg_hi:[0,1]
	v_pk_add_f32 v[16:17], v[16:17], v[4:5]
	v_mov_b32_e32 v38, v34
	v_mov_b32_e32 v39, v19
	v_pk_add_f32 v[16:17], v[16:17], v[6:7]
	v_pk_fma_f32 v[38:39], v[44:45], s[12:13], v[38:39] op_sel_hi:[1,0,1]
	v_accvgpr_read_b32 v34, a48
	ds_write2_b64 v34, v[16:17], v[38:39] offset1:11
	v_pk_add_f32 v[16:17], v[0:1], v[6:7]
	v_pk_add_f32 v[0:1], v[2:3], v[0:1] neg_lo:[0,1] neg_hi:[0,1]
	v_pk_add_f32 v[2:3], v[4:5], v[6:7] neg_lo:[0,1] neg_hi:[0,1]
	v_pk_fma_f32 v[16:17], v[16:17], 0.5, v[96:97] op_sel_hi:[1,0,1] neg_lo:[1,0,0] neg_hi:[1,0,0]
	v_pk_add_f32 v[0:1], v[0:1], v[2:3]
	v_pk_mul_f32 v[2:3], v[36:37], s[0:1] op_sel_hi:[1,0]
	v_pk_mul_f32 v[4:5], v[32:33], s[6:7] op_sel_hi:[1,0]
	v_pk_add_f32 v[6:7], v[16:17], v[2:3] op_sel:[0,1] op_sel_hi:[1,0]
	v_pk_add_f32 v[2:3], v[16:17], v[2:3] op_sel:[0,1] op_sel_hi:[1,0] neg_lo:[0,1] neg_hi:[0,1]
	v_mov_b32_e32 v19, v35
	v_pk_add_f32 v[2:3], v[2:3], v[4:5] op_sel:[0,1] op_sel_hi:[1,0]
	v_pk_add_f32 v[4:5], v[6:7], v[4:5] op_sel:[0,1] op_sel_hi:[1,0] neg_lo:[0,1] neg_hi:[0,1]
	v_mov_b32_e32 v7, v3
	v_mov_b32_e32 v6, v4
	;; [unrolled: 1-line block ×3, first 2 shown]
	v_pk_fma_f32 v[6:7], v[0:1], s[12:13], v[6:7] op_sel_hi:[1,0,1]
	v_pk_fma_f32 v[0:1], v[0:1], s[12:13], v[2:3] op_sel_hi:[1,0,1]
	ds_write2_b64 v34, v[6:7], v[0:1] offset0:22 offset1:33
	v_pk_fma_f32 v[0:1], v[44:45], s[12:13], v[18:19] op_sel_hi:[1,0,1]
	ds_write_b64 v34, v[0:1] offset:352
	v_pk_fma_f32 v[0:1], v[208:209], v[120:121], v[48:49] op_sel:[0,0,1] op_sel_hi:[1,1,0]
	v_pk_fma_f32 v[2:3], v[208:209], v[120:121], v[48:49] op_sel:[0,0,1] op_sel_hi:[1,1,0] neg_lo:[0,0,1] neg_hi:[0,0,1]
	v_pk_mul_f32 v[40:41], v[40:41], v[112:113]
	v_mov_b32_e32 v1, v3
	v_pk_fma_f32 v[2:3], v[206:207], v[116:117], v[50:51] op_sel:[0,0,1] op_sel_hi:[1,1,0]
	v_pk_fma_f32 v[4:5], v[206:207], v[116:117], v[50:51] op_sel:[0,0,1] op_sel_hi:[1,1,0] neg_lo:[0,0,1] neg_hi:[0,0,1]
	v_pk_mul_f32 v[42:43], v[42:43], v[102:103]
	v_mov_b32_e32 v3, v5
	v_pk_fma_f32 v[4:5], v[204:205], v[112:113], v[40:41] op_sel:[0,0,1] op_sel_hi:[1,1,0]
	v_pk_fma_f32 v[6:7], v[204:205], v[112:113], v[40:41] op_sel:[0,0,1] op_sel_hi:[1,1,0] neg_lo:[0,0,1] neg_hi:[0,0,1]
	v_pk_fma_f32 v[16:17], v[210:211], v[102:103], v[42:43] op_sel:[0,0,1] op_sel_hi:[1,1,0] neg_lo:[0,0,1] neg_hi:[0,0,1]
	v_mov_b32_e32 v5, v7
	v_pk_fma_f32 v[6:7], v[210:211], v[102:103], v[42:43] op_sel:[0,0,1] op_sel_hi:[1,1,0]
	v_pk_add_f32 v[18:19], v[2:3], v[4:5]
	v_mov_b32_e32 v7, v17
	v_pk_add_f32 v[32:33], v[0:1], v[6:7] neg_lo:[0,1] neg_hi:[0,1]
	v_pk_fma_f32 v[18:19], v[18:19], 0.5, v[98:99] op_sel_hi:[1,0,1] neg_lo:[1,0,0] neg_hi:[1,0,0]
	v_pk_mul_f32 v[34:35], v[32:33], s[0:1] op_sel_hi:[1,0]
	v_pk_add_f32 v[36:37], v[2:3], v[4:5] neg_lo:[0,1] neg_hi:[0,1]
	v_pk_add_f32 v[40:41], v[0:1], v[2:3] neg_lo:[0,1] neg_hi:[0,1]
	;; [unrolled: 1-line block ×3, first 2 shown]
	v_pk_add_f32 v[16:17], v[98:99], v[0:1]
	v_pk_mul_f32 v[38:39], v[36:37], s[6:7] op_sel_hi:[1,0]
	v_pk_add_f32 v[40:41], v[40:41], v[42:43]
	v_pk_add_f32 v[42:43], v[18:19], v[34:35] op_sel:[0,1] op_sel_hi:[1,0] neg_lo:[0,1] neg_hi:[0,1]
	v_pk_add_f32 v[18:19], v[18:19], v[34:35] op_sel:[0,1] op_sel_hi:[1,0]
	v_pk_add_f32 v[16:17], v[16:17], v[2:3]
	v_pk_add_f32 v[18:19], v[18:19], v[38:39] op_sel:[0,1] op_sel_hi:[1,0]
	v_pk_add_f32 v[34:35], v[42:43], v[38:39] op_sel:[0,1] op_sel_hi:[1,0] neg_lo:[0,1] neg_hi:[0,1]
	v_pk_add_f32 v[16:17], v[16:17], v[4:5]
	v_mov_b32_e32 v38, v34
	v_mov_b32_e32 v39, v19
	v_pk_add_f32 v[16:17], v[16:17], v[6:7]
	v_pk_fma_f32 v[38:39], v[40:41], s[12:13], v[38:39] op_sel_hi:[1,0,1]
	v_accvgpr_read_b32 v34, a50
	ds_write2_b64 v34, v[16:17], v[38:39] offset1:11
	v_pk_add_f32 v[16:17], v[0:1], v[6:7]
	v_pk_add_f32 v[0:1], v[2:3], v[0:1] neg_lo:[0,1] neg_hi:[0,1]
	v_pk_add_f32 v[2:3], v[4:5], v[6:7] neg_lo:[0,1] neg_hi:[0,1]
	v_pk_fma_f32 v[16:17], v[16:17], 0.5, v[98:99] op_sel_hi:[1,0,1] neg_lo:[1,0,0] neg_hi:[1,0,0]
	v_pk_add_f32 v[0:1], v[0:1], v[2:3]
	v_pk_mul_f32 v[2:3], v[36:37], s[0:1] op_sel_hi:[1,0]
	v_pk_mul_f32 v[4:5], v[32:33], s[6:7] op_sel_hi:[1,0]
	v_pk_add_f32 v[6:7], v[16:17], v[2:3] op_sel:[0,1] op_sel_hi:[1,0]
	v_pk_add_f32 v[2:3], v[16:17], v[2:3] op_sel:[0,1] op_sel_hi:[1,0] neg_lo:[0,1] neg_hi:[0,1]
	v_mov_b32_e32 v19, v35
	v_pk_add_f32 v[2:3], v[2:3], v[4:5] op_sel:[0,1] op_sel_hi:[1,0]
	v_pk_add_f32 v[4:5], v[6:7], v[4:5] op_sel:[0,1] op_sel_hi:[1,0] neg_lo:[0,1] neg_hi:[0,1]
	v_mov_b32_e32 v7, v3
	v_mov_b32_e32 v6, v4
	;; [unrolled: 1-line block ×3, first 2 shown]
	v_pk_fma_f32 v[6:7], v[0:1], s[12:13], v[6:7] op_sel_hi:[1,0,1]
	v_pk_fma_f32 v[0:1], v[0:1], s[12:13], v[2:3] op_sel_hi:[1,0,1]
	v_mov_b32_e32 v190, v80
	v_mov_b32_e32 v191, v80
	v_mov_b32_e32 v80, v81
	v_mov_b32_e32 v188, v82
	v_mov_b32_e32 v189, v82
	v_mov_b32_e32 v82, v83
	v_mov_b32_e32 v186, v76
	v_mov_b32_e32 v187, v76
	v_mov_b32_e32 v76, v77
	v_mov_b32_e32 v184, v78
	v_mov_b32_e32 v185, v78
	v_mov_b32_e32 v78, v79
	v_mov_b32_e32 v182, v72
	v_mov_b32_e32 v183, v72
	v_mov_b32_e32 v72, v73
	v_mov_b32_e32 v180, v74
	v_mov_b32_e32 v181, v74
	v_mov_b32_e32 v74, v75
	v_mov_b32_e32 v106, v68
	v_mov_b32_e32 v107, v68
	v_mov_b32_e32 v68, v69
	v_mov_b32_e32 v104, v70
	v_mov_b32_e32 v105, v70
	v_mov_b32_e32 v70, v71
	v_mov_b32_e32 v202, v92
	v_mov_b32_e32 v203, v92
	v_mov_b32_e32 v92, v93
	v_mov_b32_e32 v200, v94
	v_mov_b32_e32 v201, v94
	v_mov_b32_e32 v94, v95
	v_mov_b32_e32 v198, v88
	v_mov_b32_e32 v199, v88
	v_mov_b32_e32 v88, v89
	v_mov_b32_e32 v196, v90
	v_mov_b32_e32 v197, v90
	v_mov_b32_e32 v90, v91
	v_mov_b32_e32 v194, v84
	v_mov_b32_e32 v195, v84
	v_mov_b32_e32 v84, v85
	v_mov_b32_e32 v192, v86
	v_mov_b32_e32 v193, v86
	v_mov_b32_e32 v86, v87
	ds_write2_b64 v34, v[6:7], v[0:1] offset0:22 offset1:33
	v_pk_fma_f32 v[0:1], v[40:41], s[12:13], v[18:19] op_sel_hi:[1,0,1]
	ds_write_b64 v34, v[0:1] offset:352
	s_and_saveexec_b64 s[16:17], s[2:3]
	s_cbranch_execz .LBB0_21
; %bb.20:
	v_accvgpr_read_b32 v39, a35
	v_accvgpr_read_b32 v43, a41
	;; [unrolled: 1-line block ×7, first 2 shown]
	v_pk_mul_f32 v[0:1], v[38:39], v[40:41] op_sel:[0,1]
	v_accvgpr_read_b32 v35, a31
	v_accvgpr_read_b32 v42, a40
	v_pk_mul_f32 v[2:3], v[36:37], v[156:157] op_sel:[0,1]
	v_accvgpr_read_b32 v33, a29
	v_accvgpr_read_b32 v32, a28
	;; [unrolled: 1-line block ×3, first 2 shown]
	v_pk_fma_f32 v[16:17], v[38:39], v[40:41], v[0:1] op_sel:[0,0,1] op_sel_hi:[1,1,0]
	v_pk_fma_f32 v[0:1], v[38:39], v[40:41], v[0:1] op_sel:[0,0,1] op_sel_hi:[1,0,0] neg_lo:[1,0,0] neg_hi:[1,0,0]
	v_accvgpr_read_b32 v34, a30
	v_pk_mul_f32 v[4:5], v[32:33], v[42:43] op_sel:[0,1]
	v_accvgpr_read_b32 v19, a37
	v_mov_b32_e32 v17, v1
	v_pk_fma_f32 v[0:1], v[36:37], v[156:157], v[2:3] op_sel:[0,0,1] op_sel_hi:[1,1,0]
	v_pk_fma_f32 v[2:3], v[36:37], v[156:157], v[2:3] op_sel:[0,0,1] op_sel_hi:[1,0,0] neg_lo:[1,0,0] neg_hi:[1,0,0]
	v_pk_mul_f32 v[6:7], v[34:35], v[18:19] op_sel:[0,1]
	v_mov_b32_e32 v1, v3
	v_pk_fma_f32 v[2:3], v[32:33], v[42:43], v[4:5] op_sel:[0,0,1] op_sel_hi:[1,1,0]
	v_pk_fma_f32 v[4:5], v[32:33], v[42:43], v[4:5] op_sel:[0,0,1] op_sel_hi:[1,0,0] neg_lo:[1,0,0] neg_hi:[1,0,0]
	v_pk_add_f32 v[40:41], v[158:159], v[0:1]
	v_mov_b32_e32 v3, v5
	v_pk_fma_f32 v[4:5], v[34:35], v[18:19], v[6:7] op_sel:[0,0,1] op_sel_hi:[1,1,0]
	v_pk_fma_f32 v[6:7], v[34:35], v[18:19], v[6:7] op_sel:[0,0,1] op_sel_hi:[1,0,0] neg_lo:[1,0,0] neg_hi:[1,0,0]
	v_pk_add_f32 v[32:33], v[16:17], v[2:3]
	v_mov_b32_e32 v5, v7
	v_pk_add_f32 v[18:19], v[0:1], v[4:5] neg_lo:[0,1] neg_hi:[0,1]
	v_pk_fma_f32 v[32:33], v[32:33], 0.5, v[158:159] op_sel_hi:[1,0,1] neg_lo:[1,0,0] neg_hi:[1,0,0]
	v_pk_add_f32 v[34:35], v[0:1], v[16:17] neg_lo:[0,1] neg_hi:[0,1]
	v_pk_add_f32 v[36:37], v[4:5], v[2:3] neg_lo:[0,1] neg_hi:[0,1]
	;; [unrolled: 1-line block ×3, first 2 shown]
	v_pk_add_f32 v[34:35], v[34:35], v[36:37]
	v_pk_fma_f32 v[36:37], v[18:19], s[0:1], v[32:33] op_sel:[1,0,0] op_sel_hi:[0,0,1]
	v_pk_fma_f32 v[32:33], v[18:19], s[0:1], v[32:33] op_sel:[1,0,0] op_sel_hi:[0,0,1] neg_lo:[1,0,0] neg_hi:[1,0,0]
	v_pk_fma_f32 v[32:33], v[6:7], s[6:7], v[32:33] op_sel:[1,0,0] op_sel_hi:[0,0,1] neg_lo:[1,0,0] neg_hi:[1,0,0]
	v_pk_fma_f32 v[36:37], v[6:7], s[6:7], v[36:37] op_sel:[1,0,0] op_sel_hi:[0,0,1]
	v_mov_b32_e32 v38, v36
	v_mov_b32_e32 v39, v33
	v_pk_add_f32 v[40:41], v[40:41], v[16:17]
	v_mov_b32_e32 v33, v37
	v_pk_fma_f32 v[38:39], v[34:35], s[12:13], v[38:39] op_sel_hi:[1,0,1]
	v_pk_add_f32 v[40:41], v[40:41], v[2:3]
	v_pk_fma_f32 v[32:33], v[34:35], s[12:13], v[32:33] op_sel_hi:[1,0,1]
	v_accvgpr_read_b32 v35, a49
	v_pk_add_f32 v[40:41], v[40:41], v[4:5]
	v_add_u32_e32 v34, 0x2000, v35
	ds_write2_b64 v34, v[40:41], v[32:33] offset0:76 offset1:87
	v_pk_add_f32 v[32:33], v[0:1], v[4:5]
	v_pk_add_f32 v[0:1], v[16:17], v[0:1] neg_lo:[0,1] neg_hi:[0,1]
	v_pk_fma_f32 v[32:33], v[32:33], 0.5, v[158:159] op_sel_hi:[1,0,1] neg_lo:[1,0,0] neg_hi:[1,0,0]
	v_pk_add_f32 v[2:3], v[2:3], v[4:5] neg_lo:[0,1] neg_hi:[0,1]
	v_pk_fma_f32 v[4:5], v[6:7], s[0:1], v[32:33] op_sel:[1,0,0] op_sel_hi:[0,0,1]
	v_pk_add_f32 v[0:1], v[0:1], v[2:3]
	v_pk_fma_f32 v[2:3], v[6:7], s[0:1], v[32:33] op_sel:[1,0,0] op_sel_hi:[0,0,1] neg_lo:[1,0,0] neg_hi:[1,0,0]
	v_pk_fma_f32 v[4:5], v[18:19], s[6:7], v[4:5] op_sel:[1,0,0] op_sel_hi:[0,0,1] neg_lo:[1,0,0] neg_hi:[1,0,0]
	v_pk_fma_f32 v[2:3], v[18:19], s[6:7], v[2:3] op_sel:[1,0,0] op_sel_hi:[0,0,1]
	v_mov_b32_e32 v6, v2
	v_mov_b32_e32 v7, v5
	;; [unrolled: 1-line block ×3, first 2 shown]
	v_pk_fma_f32 v[6:7], v[0:1], s[12:13], v[6:7] op_sel_hi:[1,0,1]
	v_pk_fma_f32 v[0:1], v[0:1], s[12:13], v[4:5] op_sel_hi:[1,0,1]
	ds_write2_b64 v34, v[0:1], v[6:7] offset0:98 offset1:109
	ds_write_b64 v35, v[38:39] offset:9152
.LBB0_21:
	s_or_b64 exec, exec, s[16:17]
	v_add_u32_e32 v55, 0x800, v142
	v_add_u32_e32 v54, 0x1800, v142
	;; [unrolled: 1-line block ×4, first 2 shown]
	s_waitcnt lgkmcnt(0)
	; wave barrier
	s_waitcnt lgkmcnt(0)
	ds_read2_b64 v[0:3], v142 offset0:110 offset1:165
	ds_read2_b64 v[60:63], v55 offset0:74 offset1:129
	;; [unrolled: 1-line block ×5, first 2 shown]
	v_add_u32_e32 v56, 0x1000, v142
	ds_read2_b64 v[32:35], v55 offset0:184 offset1:239
	ds_read2_b64 v[108:111], v56 offset0:38 offset1:93
	;; [unrolled: 1-line block ×4, first 2 shown]
	ds_read_b64 v[40:41], v142 offset:8800
	v_mov_b32_e32 v38, v21
	s_waitcnt lgkmcnt(4)
	v_pk_mul_f32 v[118:119], v[38:39], v[34:35] op_sel:[0,1] op_sel_hi:[1,0]
	v_pk_mul_f32 v[38:39], v[20:21], v[34:35] op_sel:[0,1] op_sel_hi:[1,0]
	v_pk_mul_f32 v[116:117], v[20:21], v[34:35]
	v_mov_b32_e32 v38, v39
	v_pk_fma_f32 v[120:121], v[20:21], v[34:35], v[38:39] op_sel:[0,1,0] op_sel_hi:[1,0,1] neg_lo:[0,0,1] neg_hi:[0,0,1]
	v_mov_b32_e32 v34, v23
	s_waitcnt lgkmcnt(2)
	v_pk_mul_f32 v[124:125], v[34:35], v[112:113] op_sel:[0,1] op_sel_hi:[1,0]
	v_pk_mul_f32 v[34:35], v[22:23], v[112:113] op_sel:[0,1] op_sel_hi:[1,0]
	v_pk_mul_f32 v[122:123], v[22:23], v[112:113]
	v_mov_b32_e32 v34, v35
	v_pk_fma_f32 v[112:113], v[22:23], v[112:113], v[34:35] op_sel:[0,1,0] op_sel_hi:[1,0,1] neg_lo:[0,0,1] neg_hi:[0,0,1]
	v_mul_f32_e32 v34, v29, v4
	v_mov_b32_e32 v38, v67
	v_fma_f32 v126, v28, v5, -v34
	v_mul_f32_e32 v34, v27, v102
	v_pk_mul_f32 v[48:49], v[38:39], v[96:97] op_sel:[0,1] op_sel_hi:[1,0]
	v_pk_mul_f32 v[38:39], v[66:67], v[96:97] op_sel:[0,1] op_sel_hi:[1,0]
	v_fma_f32 v132, v26, v103, -v34
	v_mov_b32_e32 v34, v65
	v_mov_b32_e32 v38, v39
	v_pk_mul_f32 v[44:45], v[34:35], v[110:111] op_sel:[0,1] op_sel_hi:[1,0]
	v_pk_mul_f32 v[34:35], v[64:65], v[110:111] op_sel:[0,1] op_sel_hi:[1,0]
	v_pk_mul_f32 v[46:47], v[66:67], v[96:97]
	v_pk_fma_f32 v[38:39], v[66:67], v[96:97], v[38:39] op_sel:[0,1,0] op_sel_hi:[1,0,1] neg_lo:[0,0,1] neg_hi:[0,0,1]
	v_pk_mul_f32 v[96:97], v[28:29], v[2:3] op_sel_hi:[1,0]
	v_mov_b32_e32 v34, v35
	v_add_f32_e32 v51, v126, v132
	v_mov_b32_e32 v50, v3
	v_pk_fma_f32 v[2:3], v[28:29], v[2:3], v[96:97] op_sel:[0,1,1] op_sel_hi:[1,1,0]
	v_pk_mul_f32 v[42:43], v[64:65], v[110:111]
	v_pk_fma_f32 v[34:35], v[64:65], v[110:111], v[34:35] op_sel:[0,1,0] op_sel_hi:[1,0,1] neg_lo:[0,0,1] neg_hi:[0,0,1]
	v_pk_fma_f32 v[110:111], v[28:29], v[50:51], v[96:97] op_sel:[0,0,1] op_sel_hi:[1,1,0] neg_lo:[0,0,1] neg_hi:[0,0,1]
	v_mov_b32_e32 v2, v61
	v_pk_mul_f32 v[96:97], v[30:31], v[60:61] op_sel_hi:[1,0]
	v_mov_b32_e32 v111, v3
	v_pk_fma_f32 v[2:3], v[30:31], v[2:3], v[96:97] op_sel:[0,0,1] op_sel_hi:[1,1,0] neg_lo:[0,0,1] neg_hi:[0,0,1]
	v_pk_fma_f32 v[60:61], v[30:31], v[60:61], v[96:97] op_sel:[0,1,1] op_sel_hi:[1,1,0]
	v_mov_b32_e32 v28, v99
	v_mov_b32_e32 v3, v61
	v_pk_mul_f32 v[60:61], v[24:25], v[98:99] op_sel_hi:[1,0]
	v_mov_b32_e32 v123, v110
	v_pk_fma_f32 v[96:97], v[24:25], v[28:29], v[60:61] op_sel:[0,0,1] op_sel_hi:[1,1,0] neg_lo:[0,0,1] neg_hi:[0,0,1]
	v_pk_fma_f32 v[60:61], v[24:25], v[98:99], v[60:61] op_sel:[0,1,1] op_sel_hi:[1,1,0]
	v_mov_b32_e32 v28, v101
	;; [unrolled: 6-line block ×3, first 2 shown]
	v_mov_b32_e32 v99, v61
	v_mov_b32_e32 v119, v96
	v_pk_add_f32 v[60:61], v[110:111], v[98:99]
	v_pk_add_f32 v[100:101], v[110:111], v[98:99] neg_lo:[0,1] neg_hi:[0,1]
	v_pk_add_f32 v[134:135], v[2:3], v[96:97]
	v_pk_add_f32 v[136:137], v[2:3], v[96:97] neg_lo:[0,1] neg_hi:[0,1]
	v_pk_add_f32 v[98:99], v[122:123], v[124:125]
	v_pk_add_f32 v[2:3], v[116:117], v[118:119]
	v_mov_b32_e32 v113, v98
	v_mov_b32_e32 v121, v2
	ds_read2_b64 v[64:67], v142 offset1:55
	v_pk_add_f32 v[96:97], v[112:113], v[120:121] neg_lo:[0,1] neg_hi:[0,1]
	v_mov_b32_e32 v122, v135
	v_mov_b32_e32 v123, v120
	;; [unrolled: 1-line block ×8, first 2 shown]
	s_mov_b32 s12, 0x3f08b237
	v_pk_add_f32 v[112:113], v[122:123], v[120:121]
	v_pk_add_f32 v[120:121], v[2:3], v[98:99]
	s_mov_b32 s18, 0x3d64c772
	v_pk_add_f32 v[110:111], v[110:111], v[116:117] neg_lo:[0,1] neg_hi:[0,1]
	s_mov_b32 s13, 0xbeae86e6
	v_mov_b32_e32 v116, v100
	v_mov_b32_e32 v118, v96
	;; [unrolled: 1-line block ×8, first 2 shown]
	s_mov_b32 s19, 0x3f4a47b2
	v_pk_add_f32 v[116:117], v[116:117], v[118:119] neg_lo:[0,1] neg_hi:[0,1]
	s_mov_b32 s2, s13
	s_mov_b32 s3, s12
	v_pk_add_f32 v[122:123], v[98:99], v[122:123] neg_lo:[0,1] neg_hi:[0,1]
	v_pk_add_f32 v[124:125], v[124:125], v[2:3] neg_lo:[0,1] neg_hi:[0,1]
	s_mov_b32 s20, s19
	s_mov_b32 s21, s18
	v_pk_mul_f32 v[110:111], v[110:111], s[12:13]
	v_pk_mul_f32 v[118:119], v[116:117], s[2:3]
	v_pk_add_f32 v[96:97], v[96:97], v[136:137]
	v_pk_add_f32 v[112:113], v[112:113], v[120:121]
	v_pk_mul_f32 v[120:121], v[122:123], s[18:19]
	v_pk_mul_f32 v[122:123], v[124:125], s[20:21]
	v_mov_b32_e32 v2, v135
	v_mov_b32_e32 v98, v61
	;; [unrolled: 1-line block ×3, first 2 shown]
	v_pk_add_f32 v[96:97], v[96:97], v[100:101]
	s_waitcnt lgkmcnt(0)
	v_pk_add_f32 v[64:65], v[64:65], v[112:113]
	s_mov_b32 s16, 0x3f955555
	v_pk_add_f32 v[100:101], v[136:137], v[100:101] neg_lo:[0,1] neg_hi:[0,1]
	s_mov_b32 s6, 0xbf5ff5aa
	v_pk_add_f32 v[2:3], v[2:3], v[98:99] neg_lo:[0,1] neg_hi:[0,1]
	s_mov_b32 s14, 0x3f3bfb3b
	v_mov_b32_e32 v60, v122
	v_mov_b32_e32 v61, v121
	;; [unrolled: 1-line block ×4, first 2 shown]
	s_mov_b32 s0, 0xbee1c552
	v_pk_fma_f32 v[112:113], v[112:113], s[16:17], v[64:65] op_sel_hi:[1,0,1] neg_lo:[1,0,0] neg_hi:[1,0,0]
	v_pk_fma_f32 v[124:125], v[124:125], s[20:21], v[120:121]
	v_pk_fma_f32 v[116:117], v[116:117], s[2:3], v[110:111]
	v_pk_fma_f32 v[60:61], v[2:3], s[14:15], v[60:61] op_sel_hi:[1,0,1] neg_lo:[1,0,1] neg_hi:[1,0,1]
	v_pk_fma_f32 v[98:99], v[100:101], s[6:7], v[98:99] op_sel_hi:[1,0,1] neg_lo:[1,0,1] neg_hi:[1,0,1]
	v_pk_add_f32 v[124:125], v[124:125], v[112:113]
	v_pk_fma_f32 v[116:117], v[96:97], s[0:1], v[116:117] op_sel_hi:[1,0,1]
	v_pk_add_f32 v[60:61], v[60:61], v[112:113]
	v_pk_fma_f32 v[98:99], v[96:97], s[0:1], v[98:99] op_sel_hi:[1,0,1]
	v_mov_b32_e32 v121, v123
	v_mov_b32_e32 v111, v119
	v_pk_add_f32 v[138:139], v[124:125], v[116:117]
	v_pk_add_f32 v[116:117], v[124:125], v[116:117] neg_lo:[0,1] neg_hi:[0,1]
	v_pk_add_f32 v[124:125], v[60:61], v[98:99]
	v_pk_add_f32 v[60:61], v[60:61], v[98:99] neg_lo:[0,1] neg_hi:[0,1]
	v_pk_fma_f32 v[2:3], v[2:3], s[14:15], v[120:121] op_sel_hi:[1,0,1] neg_lo:[0,0,1] neg_hi:[0,0,1]
	v_pk_fma_f32 v[98:99], v[100:101], s[6:7], v[110:111] op_sel_hi:[1,0,1] neg_lo:[0,0,1] neg_hi:[0,0,1]
	v_mul_f32_e32 v129, v31, v63
	v_pk_add_f32 v[2:3], v[2:3], v[112:113]
	v_pk_fma_f32 v[96:97], v[96:97], s[0:1], v[98:99] op_sel_hi:[1,0,1]
	v_fmac_f32_e32 v129, v30, v62
	v_pk_add_f32 v[98:99], v[2:3], v[96:97] neg_lo:[0,1] neg_hi:[0,1]
	v_pk_add_f32 v[2:3], v[2:3], v[96:97]
	v_mov_b32_e32 v97, v30
	v_mov_b32_e32 v30, v21
	;; [unrolled: 1-line block ×7, first 2 shown]
	v_pk_mul_f32 v[30:31], v[30:31], v[110:111]
	v_mul_f32_e32 v131, v25, v17
	v_pk_fma_f32 v[62:63], v[20:21], v[108:109], v[30:31]
	v_pk_fma_f32 v[30:31], v[96:97], v[100:101], v[30:31] neg_lo:[0,0,1] neg_hi:[0,0,1]
	v_mov_b32_e32 v96, v4
	v_mov_b32_e32 v20, v29
	;; [unrolled: 1-line block ×4, first 2 shown]
	v_accvgpr_read_b32 v28, a42
	v_mov_b32_e32 v97, v109
	v_pk_mul_f32 v[4:5], v[20:21], v[4:5]
	v_accvgpr_read_b32 v29, a43
	v_fmac_f32_e32 v131, v24, v16
	v_pk_fma_f32 v[20:21], v[28:29], v[96:97], v[4:5]
	v_pk_fma_f32 v[4:5], v[28:29], v[96:97], v[4:5] neg_lo:[0,0,1] neg_hi:[0,0,1]
	v_mov_b32_e32 v29, v24
	v_mov_b32_e32 v24, v23
	;; [unrolled: 1-line block ×7, first 2 shown]
	v_pk_mul_f32 v[16:17], v[24:25], v[100:101]
	v_mov_b32_e32 v26, v103
	v_pk_fma_f32 v[24:25], v[22:23], v[114:115], v[16:17]
	v_pk_fma_f32 v[16:17], v[28:29], v[96:97], v[16:17] neg_lo:[0,0,1] neg_hi:[0,0,1]
	v_mov_b32_e32 v22, v27
	v_mov_b32_e32 v27, v114
	v_accvgpr_read_b32 v97, a47
	v_mov_b32_e32 v28, v102
	v_mov_b32_e32 v29, v115
	v_pk_mul_f32 v[22:23], v[22:23], v[26:27]
	v_accvgpr_read_b32 v96, a46
	v_pk_fma_f32 v[26:27], v[96:97], v[28:29], v[22:23]
	v_pk_fma_f32 v[22:23], v[96:97], v[28:29], v[22:23] neg_lo:[0,0,1] neg_hi:[0,0,1]
	v_mov_b32_e32 v63, v31
	v_mov_b32_e32 v21, v5
	;; [unrolled: 1-line block ×4, first 2 shown]
	v_add_f32_e32 v52, v129, v131
	v_mov_b32_e32 v127, v20
	v_mov_b32_e32 v133, v26
	;; [unrolled: 1-line block ×4, first 2 shown]
	v_pk_add_f32 v[30:31], v[62:63], v[24:25]
	v_pk_add_f32 v[20:21], v[20:21], v[26:27]
	v_mov_b32_e32 v22, v23
	v_mov_b32_e32 v23, v24
	;; [unrolled: 1-line block ×4, first 2 shown]
	v_pk_add_f32 v[28:29], v[126:127], v[132:133] neg_lo:[0,1] neg_hi:[0,1]
	v_pk_add_f32 v[16:17], v[128:129], v[130:131] neg_lo:[0,1] neg_hi:[0,1]
	;; [unrolled: 1-line block ×3, first 2 shown]
	v_mov_b32_e32 v53, v31
	v_mov_b32_e32 v50, v20
	;; [unrolled: 1-line block ×6, first 2 shown]
	v_pk_add_f32 v[22:23], v[52:53], v[50:51]
	v_pk_add_f32 v[24:25], v[24:25], v[26:27] neg_lo:[0,1] neg_hi:[0,1]
	v_pk_add_f32 v[26:27], v[20:21], v[30:31] neg_lo:[0,1] neg_hi:[0,1]
	v_mov_b32_e32 v96, v4
	v_mov_b32_e32 v97, v29
	;; [unrolled: 1-line block ×5, first 2 shown]
	v_pk_add_f32 v[62:63], v[4:5], v[16:17]
	v_pk_add_f32 v[96:97], v[96:97], v[100:101] neg_lo:[0,1] neg_hi:[0,1]
	v_mov_b32_e32 v100, v28
	v_mov_b32_e32 v5, v17
	v_pk_add_f32 v[20:21], v[30:31], v[22:23]
	v_pk_add_f32 v[4:5], v[100:101], v[4:5] neg_lo:[0,1] neg_hi:[0,1]
	v_pk_add_f32 v[30:31], v[66:67], v[20:21]
	v_pk_mul_f32 v[24:25], v[24:25], s[18:19]
	v_pk_mul_f32 v[96:97], v[96:97], s[12:13]
	v_pk_add_f32 v[22:23], v[62:63], v[28:29]
	v_pk_mul_f32 v[62:63], v[26:27], s[20:21]
	v_pk_mul_f32 v[66:67], v[4:5], s[2:3]
	v_pk_fma_f32 v[20:21], v[20:21], s[16:17], v[30:31] op_sel_hi:[1,0,1] neg_lo:[1,0,0] neg_hi:[1,0,0]
	v_pk_fma_f32 v[26:27], v[26:27], s[20:21], v[24:25]
	v_pk_fma_f32 v[4:5], v[4:5], s[2:3], v[96:97]
	v_pk_add_f32 v[26:27], v[26:27], v[20:21]
	v_pk_fma_f32 v[4:5], v[22:23], s[0:1], v[4:5] op_sel_hi:[1,0,1]
	s_nop 0
	v_pk_add_f32 v[100:101], v[26:27], v[4:5] neg_lo:[0,1] neg_hi:[0,1]
	v_pk_add_f32 v[4:5], v[26:27], v[4:5]
	v_mov_b32_e32 v26, v138
	v_mov_b32_e32 v27, v117
	; wave barrier
	ds_write2_b64 v142, v[64:65], v[26:27] offset1:55
	v_mov_b32_e32 v26, v124
	v_mov_b32_e32 v27, v61
	;; [unrolled: 1-line block ×5, first 2 shown]
	ds_write2_b64 v142, v[26:27], v[64:65] offset0:110 offset1:165
	ds_write2_b64 v55, v[116:117], v[30:31] offset0:74 offset1:129
	v_pk_add_f32 v[26:27], v[52:53], v[50:51] neg_lo:[0,1] neg_hi:[0,1]
	v_pk_add_f32 v[16:17], v[16:17], v[28:29] neg_lo:[0,1] neg_hi:[0,1]
	v_mov_b32_e32 v28, v62
	v_mov_b32_e32 v29, v25
	;; [unrolled: 1-line block ×4, first 2 shown]
	v_pk_fma_f32 v[28:29], v[26:27], s[14:15], v[28:29] op_sel_hi:[1,0,1] neg_lo:[1,0,1] neg_hi:[1,0,1]
	v_pk_fma_f32 v[30:31], v[16:17], s[6:7], v[30:31] op_sel_hi:[1,0,1] neg_lo:[1,0,1] neg_hi:[1,0,1]
	v_pk_add_f32 v[28:29], v[28:29], v[20:21]
	v_pk_fma_f32 v[30:31], v[22:23], s[0:1], v[30:31] op_sel_hi:[1,0,1]
	v_mov_b32_e32 v3, v99
	v_mov_b32_e32 v61, v125
	v_pk_add_f32 v[50:51], v[28:29], v[30:31] neg_lo:[0,1] neg_hi:[0,1]
	v_pk_add_f32 v[28:29], v[28:29], v[30:31]
	ds_write2_b64 v57, v[2:3], v[60:61] offset0:92 offset1:147
	v_mov_b32_e32 v2, v4
	v_mov_b32_e32 v3, v101
	;; [unrolled: 1-line block ×6, first 2 shown]
	ds_write2_b64 v55, v[2:3], v[30:31] offset0:184 offset1:239
	v_pk_fma_f32 v[2:3], v[26:27], s[14:15], v[24:25] op_sel_hi:[1,0,1] neg_lo:[0,0,1] neg_hi:[0,0,1]
	v_pk_fma_f32 v[16:17], v[16:17], s[6:7], v[96:97] op_sel_hi:[1,0,1] neg_lo:[0,0,1] neg_hi:[0,0,1]
	v_pk_add_f32 v[2:3], v[2:3], v[20:21]
	v_pk_fma_f32 v[16:17], v[22:23], s[0:1], v[16:17] op_sel_hi:[1,0,1]
	v_mov_b32_e32 v101, v5
	v_pk_add_f32 v[20:21], v[2:3], v[16:17]
	v_pk_add_f32 v[2:3], v[2:3], v[16:17] neg_lo:[0,1] neg_hi:[0,1]
	v_pk_mul_f32 v[4:5], v[12:13], v[6:7] op_sel_hi:[1,0]
	v_mov_b32_e32 v16, v2
	v_mov_b32_e32 v2, v7
	;; [unrolled: 1-line block ×4, first 2 shown]
	v_pk_fma_f32 v[2:3], v[12:13], v[2:3], v[4:5] op_sel:[0,0,1] op_sel_hi:[1,1,0] neg_lo:[0,0,1] neg_hi:[0,0,1]
	v_pk_fma_f32 v[4:5], v[12:13], v[6:7], v[4:5] op_sel:[0,1,1] op_sel_hi:[1,1,0]
	v_pk_mul_f32 v[6:7], v[14:15], v[32:33] op_sel_hi:[1,0]
	v_mov_b32_e32 v4, v33
	v_mov_b32_e32 v3, v5
	v_pk_fma_f32 v[4:5], v[14:15], v[4:5], v[6:7] op_sel:[0,0,1] op_sel_hi:[1,1,0] neg_lo:[0,0,1] neg_hi:[0,0,1]
	v_pk_fma_f32 v[6:7], v[14:15], v[32:33], v[6:7] op_sel:[0,1,1] op_sel_hi:[1,1,0]
	v_pk_mul_f32 v[12:13], v[8:9], v[18:19] op_sel_hi:[1,0]
	v_mov_b32_e32 v6, v19
	v_mov_b32_e32 v5, v7
	;; [unrolled: 5-line block ×3, first 2 shown]
	v_pk_fma_f32 v[8:9], v[10:11], v[8:9], v[12:13] op_sel:[0,0,1] op_sel_hi:[1,1,0] neg_lo:[0,0,1] neg_hi:[0,0,1]
	v_pk_fma_f32 v[10:11], v[10:11], v[40:41], v[12:13] op_sel:[0,1,1] op_sel_hi:[1,1,0]
	v_mov_b32_e32 v47, v2
	v_mov_b32_e32 v9, v11
	;; [unrolled: 1-line block ×5, first 2 shown]
	ds_write2_b64 v56, v[16:17], v[20:21] offset0:38 offset1:93
	v_pk_add_f32 v[10:11], v[2:3], v[8:9]
	v_pk_add_f32 v[12:13], v[2:3], v[8:9] neg_lo:[0,1] neg_hi:[0,1]
	v_pk_add_f32 v[14:15], v[4:5], v[6:7]
	v_pk_add_f32 v[16:17], v[4:5], v[6:7] neg_lo:[0,1] neg_hi:[0,1]
	v_pk_add_f32 v[2:3], v[46:47], v[48:49]
	v_pk_add_f32 v[4:5], v[42:43], v[44:45]
	v_mov_b32_e32 v39, v2
	v_mov_b32_e32 v35, v4
	;; [unrolled: 1-line block ×6, first 2 shown]
	v_pk_add_f32 v[6:7], v[38:39], v[34:35] neg_lo:[0,1] neg_hi:[0,1]
	v_pk_add_f32 v[22:23], v[22:23], v[24:25]
	v_pk_add_f32 v[24:25], v[4:5], v[2:3]
	v_mov_b32_e32 v8, v6
	v_mov_b32_e32 v9, v13
	;; [unrolled: 1-line block ×8, first 2 shown]
	v_pk_add_f32 v[8:9], v[8:9], v[18:19] neg_lo:[0,1] neg_hi:[0,1]
	v_mov_b32_e32 v18, v12
	v_mov_b32_e32 v20, v6
	;; [unrolled: 1-line block ×3, first 2 shown]
	v_pk_add_f32 v[26:27], v[2:3], v[26:27] neg_lo:[0,1] neg_hi:[0,1]
	v_mov_b32_e32 v28, v11
	v_mov_b32_e32 v29, v23
	;; [unrolled: 1-line block ×3, first 2 shown]
	v_pk_add_f32 v[22:23], v[22:23], v[24:25]
	v_pk_mul_f32 v[8:9], v[8:9], s[12:13]
	v_pk_add_f32 v[18:19], v[18:19], v[20:21] neg_lo:[0,1] neg_hi:[0,1]
	v_pk_add_f32 v[6:7], v[6:7], v[16:17]
	v_pk_add_f32 v[28:29], v[28:29], v[4:5] neg_lo:[0,1] neg_hi:[0,1]
	v_pk_add_f32 v[0:1], v[0:1], v[22:23]
	v_pk_mul_f32 v[24:25], v[26:27], s[18:19]
	v_pk_mul_f32 v[20:21], v[18:19], s[2:3]
	v_pk_add_f32 v[6:7], v[6:7], v[12:13]
	v_pk_mul_f32 v[26:27], v[28:29], s[20:21]
	v_pk_fma_f32 v[22:23], v[22:23], s[16:17], v[0:1] op_sel_hi:[1,0,1] neg_lo:[1,0,0] neg_hi:[1,0,0]
	v_pk_fma_f32 v[28:29], v[28:29], s[20:21], v[24:25]
	v_pk_fma_f32 v[18:19], v[18:19], s[2:3], v[8:9]
	v_pk_add_f32 v[28:29], v[28:29], v[22:23]
	v_pk_fma_f32 v[18:19], v[6:7], s[0:1], v[18:19] op_sel_hi:[1,0,1]
	v_mov_b32_e32 v4, v15
	v_pk_add_f32 v[30:31], v[28:29], v[18:19]
	v_pk_add_f32 v[18:19], v[28:29], v[18:19] neg_lo:[0,1] neg_hi:[0,1]
	v_mov_b32_e32 v28, v30
	v_accvgpr_read_b32 v30, a9
	v_mov_b32_e32 v29, v19
	v_add_u32_e32 v14, 0x1800, v30
	v_mov_b32_e32 v2, v11
	ds_write2_b64 v56, v[50:51], v[100:101] offset0:148 offset1:203
	ds_write2_b64 v14, v[0:1], v[28:29] offset0:2 offset1:57
	v_pk_add_f32 v[0:1], v[16:17], v[12:13] neg_lo:[0,1] neg_hi:[0,1]
	v_pk_add_f32 v[2:3], v[4:5], v[2:3] neg_lo:[0,1] neg_hi:[0,1]
	v_mov_b32_e32 v4, v26
	v_mov_b32_e32 v5, v25
	;; [unrolled: 1-line block ×6, first 2 shown]
	v_pk_fma_f32 v[4:5], v[2:3], s[14:15], v[4:5] op_sel_hi:[1,0,1] neg_lo:[1,0,1] neg_hi:[1,0,1]
	v_pk_fma_f32 v[10:11], v[0:1], s[6:7], v[10:11] op_sel_hi:[1,0,1] neg_lo:[1,0,1] neg_hi:[1,0,1]
	;; [unrolled: 1-line block ×4, first 2 shown]
	v_pk_add_f32 v[4:5], v[4:5], v[22:23]
	v_pk_fma_f32 v[10:11], v[6:7], s[0:1], v[10:11] op_sel_hi:[1,0,1]
	v_pk_add_f32 v[2:3], v[2:3], v[22:23]
	v_pk_fma_f32 v[0:1], v[6:7], s[0:1], v[0:1] op_sel_hi:[1,0,1]
	v_pk_add_f32 v[12:13], v[4:5], v[10:11]
	v_pk_add_f32 v[4:5], v[4:5], v[10:11] neg_lo:[0,1] neg_hi:[0,1]
	v_pk_add_f32 v[6:7], v[2:3], v[0:1] neg_lo:[0,1] neg_hi:[0,1]
	v_pk_add_f32 v[0:1], v[2:3], v[0:1]
	v_mov_b32_e32 v10, v12
	v_mov_b32_e32 v11, v5
	;; [unrolled: 1-line block ×4, first 2 shown]
	ds_write2_b64 v14, v[10:11], v[2:3] offset0:112 offset1:167
	v_mov_b32_e32 v1, v7
	v_mov_b32_e32 v5, v13
	v_add_u32_e32 v2, 0x1c00, v30
	v_mov_b32_e32 v19, v31
	ds_write2_b64 v2, v[0:1], v[4:5] offset0:94 offset1:149
	ds_write_b64 v30, v[18:19] offset:8800
	s_waitcnt lgkmcnt(0)
	; wave barrier
	s_waitcnt lgkmcnt(0)
	ds_read2_b64 v[0:3], v55 offset0:74 offset1:129
	ds_read2_b64 v[4:7], v142 offset1:55
	ds_read2_b64 v[8:11], v54 offset0:2 offset1:57
	v_accvgpr_read_b32 v60, a18
	v_mad_u64_u32 v[24:25], s[0:1], s10, v60, 0
	s_waitcnt lgkmcnt(2)
	v_pk_mul_f32 v[12:13], v[92:93], v[2:3]
	s_mov_b32 s0, 0x3f5db3d7
	v_pk_fma_f32 v[28:29], v[202:203], v[2:3], v[12:13] op_sel:[0,0,1] op_sel_hi:[1,1,0]
	v_pk_fma_f32 v[2:3], v[202:203], v[2:3], v[12:13] op_sel:[0,0,1] op_sel_hi:[1,1,0] neg_lo:[0,0,1] neg_hi:[0,0,1]
	ds_read2_b64 v[12:15], v55 offset0:184 offset1:239
	v_mov_b32_e32 v29, v3
	s_waitcnt lgkmcnt(1)
	v_pk_mul_f32 v[2:3], v[94:95], v[8:9]
	v_mov_b32_e32 v26, v25
	v_pk_fma_f32 v[30:31], v[200:201], v[8:9], v[2:3] op_sel:[0,0,1] op_sel_hi:[1,1,0]
	v_pk_fma_f32 v[2:3], v[200:201], v[8:9], v[2:3] op_sel:[0,0,1] op_sel_hi:[1,1,0] neg_lo:[0,0,1] neg_hi:[0,0,1]
	s_waitcnt lgkmcnt(0)
	v_pk_mul_f32 v[8:9], v[88:89], v[12:13]
	v_mov_b32_e32 v31, v3
	v_pk_fma_f32 v[32:33], v[198:199], v[12:13], v[8:9] op_sel:[0,0,1] op_sel_hi:[1,1,0]
	v_pk_fma_f32 v[8:9], v[198:199], v[12:13], v[8:9] op_sel:[0,0,1] op_sel_hi:[1,1,0] neg_lo:[0,0,1] neg_hi:[0,0,1]
	v_pk_mul_f32 v[12:13], v[84:85], v[14:15]
	v_mov_b32_e32 v33, v9
	v_pk_mul_f32 v[8:9], v[90:91], v[10:11]
	v_pk_fma_f32 v[40:41], v[194:195], v[14:15], v[12:13] op_sel:[0,0,1] op_sel_hi:[1,1,0]
	v_pk_fma_f32 v[34:35], v[196:197], v[10:11], v[8:9] op_sel:[0,0,1] op_sel_hi:[1,1,0]
	v_pk_fma_f32 v[8:9], v[196:197], v[10:11], v[8:9] op_sel:[0,0,1] op_sel_hi:[1,1,0] neg_lo:[0,0,1] neg_hi:[0,0,1]
	v_pk_fma_f32 v[12:13], v[194:195], v[14:15], v[12:13] op_sel:[0,0,1] op_sel_hi:[1,1,0] neg_lo:[0,0,1] neg_hi:[0,0,1]
	v_mov_b32_e32 v35, v9
	v_pk_add_f32 v[8:9], v[6:7], v[32:33]
	v_mov_b32_e32 v41, v13
	v_pk_add_f32 v[38:39], v[8:9], v[34:35]
	ds_read2_b64 v[8:11], v142 offset0:110 offset1:165
	ds_read2_b64 v[16:19], v54 offset0:112 offset1:167
	;; [unrolled: 1-line block ×3, first 2 shown]
	v_pk_add_f32 v[2:3], v[4:5], v[28:29]
	v_mov_b32_e32 v37, s15
	v_pk_add_f32 v[2:3], v[2:3], v[30:31]
	s_waitcnt lgkmcnt(1)
	v_pk_mul_f32 v[20:21], v[86:87], v[16:17]
	s_waitcnt lgkmcnt(0)
	v_pk_mul_f32 v[50:51], v[76:77], v[14:15]
	v_pk_fma_f32 v[42:43], v[192:193], v[16:17], v[20:21] op_sel:[0,0,1] op_sel_hi:[1,1,0]
	v_pk_fma_f32 v[16:17], v[192:193], v[16:17], v[20:21] op_sel:[0,0,1] op_sel_hi:[1,1,0] neg_lo:[0,0,1] neg_hi:[0,0,1]
	v_pk_fma_f32 v[52:53], v[186:187], v[14:15], v[50:51] op_sel:[0,0,1] op_sel_hi:[1,1,0]
	v_mov_b32_e32 v43, v17
	v_pk_add_f32 v[16:17], v[8:9], v[40:41]
	v_pk_fma_f32 v[14:15], v[186:187], v[14:15], v[50:51] op_sel:[0,0,1] op_sel_hi:[1,1,0] neg_lo:[0,0,1] neg_hi:[0,0,1]
	v_pk_add_f32 v[44:45], v[16:17], v[42:43]
	v_pk_mul_f32 v[16:17], v[80:81], v[12:13]
	v_mov_b32_e32 v53, v15
	v_pk_fma_f32 v[46:47], v[190:191], v[12:13], v[16:17] op_sel:[0,0,1] op_sel_hi:[1,1,0]
	v_pk_fma_f32 v[12:13], v[190:191], v[12:13], v[16:17] op_sel:[0,0,1] op_sel_hi:[1,1,0] neg_lo:[0,0,1] neg_hi:[0,0,1]
	s_movk_i32 s7, 0x1000
	v_mov_b32_e32 v47, v13
	v_pk_mul_f32 v[12:13], v[82:83], v[18:19]
	s_movk_i32 s6, 0x2000
	v_pk_fma_f32 v[48:49], v[188:189], v[18:19], v[12:13] op_sel:[0,0,1] op_sel_hi:[1,1,0]
	v_pk_fma_f32 v[12:13], v[188:189], v[18:19], v[12:13] op_sel:[0,0,1] op_sel_hi:[1,1,0] neg_lo:[0,0,1] neg_hi:[0,0,1]
	ds_read2_b64 v[16:19], v57 offset0:92 offset1:147
	ds_read2_b64 v[20:23], v58 offset0:94 offset1:149
	v_mov_b32_e32 v49, v13
	v_pk_add_f32 v[12:13], v[10:11], v[46:47]
	s_waitcnt lgkmcnt(0)
	v_pk_mul_f32 v[14:15], v[78:79], v[20:21]
	v_pk_add_f32 v[12:13], v[12:13], v[48:49]
	ds_write2_b64 v142, v[2:3], v[38:39] offset1:55
	ds_write2_b64 v142, v[44:45], v[12:13] offset0:110 offset1:165
	v_pk_add_f32 v[2:3], v[46:47], v[48:49]
	v_pk_fma_f32 v[50:51], v[184:185], v[20:21], v[14:15] op_sel:[0,0,1] op_sel_hi:[1,1,0]
	v_pk_fma_f32 v[2:3], v[2:3], 0.5, v[10:11] op_sel_hi:[1,0,1] neg_lo:[1,0,0] neg_hi:[1,0,0]
	v_pk_add_f32 v[10:11], v[46:47], v[48:49] neg_lo:[0,1] neg_hi:[0,1]
	s_nop 0
	v_pk_mul_f32 v[10:11], v[10:11], s[0:1] op_sel_hi:[1,0]
	s_nop 0
	v_pk_add_f32 v[12:13], v[2:3], v[10:11] op_sel:[0,1] op_sel_hi:[1,0] neg_lo:[0,1] neg_hi:[0,1]
	v_pk_add_f32 v[2:3], v[2:3], v[10:11] op_sel:[0,1] op_sel_hi:[1,0]
	v_mov_b32_e32 v10, v12
	v_mov_b32_e32 v11, v3
	;; [unrolled: 1-line block ×3, first 2 shown]
	ds_write_b64 v142, v[10:11] offset:4400
	ds_write_b64 v142, v[2:3] offset:7480
	ds_read2_b64 v[10:13], v56 offset0:148 offset1:203
	v_pk_fma_f32 v[2:3], v[184:185], v[20:21], v[14:15] op_sel:[0,0,1] op_sel_hi:[1,1,0] neg_lo:[0,0,1] neg_hi:[0,0,1]
	s_waitcnt lgkmcnt(0)
	v_pk_mul_f32 v[14:15], v[72:73], v[10:11]
	s_nop 0
	v_pk_fma_f32 v[20:21], v[182:183], v[10:11], v[14:15] op_sel:[0,0,1] op_sel_hi:[1,1,0]
	v_pk_fma_f32 v[10:11], v[182:183], v[10:11], v[14:15] op_sel:[0,0,1] op_sel_hi:[1,1,0] neg_lo:[0,0,1] neg_hi:[0,0,1]
	v_pk_mul_f32 v[38:39], v[68:69], v[12:13]
	v_mov_b32_e32 v21, v11
	v_pk_mul_f32 v[10:11], v[74:75], v[22:23]
	v_pk_fma_f32 v[44:45], v[106:107], v[12:13], v[38:39] op_sel:[0,0,1] op_sel_hi:[1,1,0]
	v_pk_fma_f32 v[14:15], v[180:181], v[22:23], v[10:11] op_sel:[0,0,1] op_sel_hi:[1,1,0]
	v_pk_fma_f32 v[10:11], v[180:181], v[22:23], v[10:11] op_sel:[0,0,1] op_sel_hi:[1,1,0] neg_lo:[0,0,1] neg_hi:[0,0,1]
	ds_read_b64 v[22:23], v142 offset:8800
	v_pk_fma_f32 v[12:13], v[106:107], v[12:13], v[38:39] op_sel:[0,0,1] op_sel_hi:[1,1,0] neg_lo:[0,0,1] neg_hi:[0,0,1]
	v_mov_b32_e32 v51, v3
	v_mov_b32_e32 v45, v13
	v_pk_add_f32 v[2:3], v[16:17], v[52:53]
	s_waitcnt lgkmcnt(0)
	v_pk_mul_f32 v[12:13], v[70:71], v[22:23]
	v_pk_add_f32 v[2:3], v[2:3], v[50:51]
	v_pk_fma_f32 v[38:39], v[104:105], v[22:23], v[12:13] op_sel:[0,0,1] op_sel_hi:[1,1,0]
	v_pk_fma_f32 v[12:13], v[104:105], v[22:23], v[12:13] op_sel:[0,0,1] op_sel_hi:[1,1,0] neg_lo:[0,0,1] neg_hi:[0,0,1]
	v_pk_add_f32 v[22:23], v[28:29], v[30:31]
	v_mov_b32_e32 v15, v11
	v_pk_fma_f32 v[4:5], v[22:23], 0.5, v[4:5] op_sel_hi:[1,0,1] neg_lo:[1,0,0] neg_hi:[1,0,0]
	v_pk_add_f32 v[22:23], v[28:29], v[30:31] neg_lo:[0,1] neg_hi:[0,1]
	v_pk_add_f32 v[10:11], v[18:19], v[20:21]
	v_pk_mul_f32 v[22:23], v[22:23], s[0:1] op_sel_hi:[1,0]
	v_pk_add_f32 v[10:11], v[10:11], v[14:15]
	v_pk_add_f32 v[28:29], v[4:5], v[22:23] op_sel:[0,1] op_sel_hi:[1,0] neg_lo:[0,1] neg_hi:[0,1]
	v_pk_add_f32 v[4:5], v[4:5], v[22:23] op_sel:[0,1] op_sel_hi:[1,0]
	v_mov_b32_e32 v23, v29
	v_mov_b32_e32 v22, v4
	;; [unrolled: 1-line block ×3, first 2 shown]
	v_pk_add_f32 v[4:5], v[32:33], v[34:35]
	v_mov_b32_e32 v39, v13
	v_pk_fma_f32 v[4:5], v[4:5], 0.5, v[6:7] op_sel_hi:[1,0,1] neg_lo:[1,0,0] neg_hi:[1,0,0]
	v_pk_add_f32 v[6:7], v[32:33], v[34:35] neg_lo:[0,1] neg_hi:[0,1]
	v_pk_add_f32 v[12:13], v[0:1], v[44:45]
	v_pk_mul_f32 v[6:7], v[6:7], s[0:1] op_sel_hi:[1,0]
	v_pk_add_f32 v[12:13], v[12:13], v[38:39]
	v_pk_add_f32 v[30:31], v[4:5], v[6:7] op_sel:[0,1] op_sel_hi:[1,0] neg_lo:[0,1] neg_hi:[0,1]
	v_pk_add_f32 v[4:5], v[4:5], v[6:7] op_sel:[0,1] op_sel_hi:[1,0]
	v_mov_b32_e32 v7, v31
	v_mov_b32_e32 v6, v4
	ds_write2_b64 v54, v[22:23], v[6:7] offset0:2 offset1:57
	v_mov_b32_e32 v31, v5
	v_pk_add_f32 v[4:5], v[40:41], v[42:43]
	v_pk_add_f32 v[6:7], v[40:41], v[42:43] neg_lo:[0,1] neg_hi:[0,1]
	v_pk_fma_f32 v[4:5], v[4:5], 0.5, v[8:9] op_sel_hi:[1,0,1] neg_lo:[1,0,0] neg_hi:[1,0,0]
	v_pk_mul_f32 v[6:7], v[6:7], s[0:1] op_sel_hi:[1,0]
	ds_write2_b64 v55, v[28:29], v[30:31] offset0:129 offset1:184
	v_pk_add_f32 v[8:9], v[4:5], v[6:7] op_sel:[0,1] op_sel_hi:[1,0] neg_lo:[0,1] neg_hi:[0,1]
	v_pk_add_f32 v[4:5], v[4:5], v[6:7] op_sel:[0,1] op_sel_hi:[1,0]
	v_mov_b32_e32 v7, v9
	v_mov_b32_e32 v6, v4
	ds_write_b64 v142, v[6:7] offset:7040
	v_mov_b32_e32 v9, v5
	v_pk_add_f32 v[4:5], v[52:53], v[50:51]
	v_pk_add_f32 v[6:7], v[52:53], v[50:51] neg_lo:[0,1] neg_hi:[0,1]
	v_pk_fma_f32 v[4:5], v[4:5], 0.5, v[16:17] op_sel_hi:[1,0,1] neg_lo:[1,0,0] neg_hi:[1,0,0]
	v_pk_mul_f32 v[6:7], v[6:7], s[0:1] op_sel_hi:[1,0]
	ds_write_b64 v142, v[8:9] offset:3960
	v_pk_add_f32 v[8:9], v[4:5], v[6:7] op_sel:[0,1] op_sel_hi:[1,0] neg_lo:[0,1] neg_hi:[0,1]
	v_pk_add_f32 v[4:5], v[4:5], v[6:7] op_sel:[0,1] op_sel_hi:[1,0]
	v_mov_b32_e32 v6, v8
	v_mov_b32_e32 v7, v5
	;; [unrolled: 1-line block ×3, first 2 shown]
	ds_write_b64 v142, v[4:5] offset:7920
	ds_write2_b64 v57, v[2:3], v[10:11] offset0:92 offset1:147
	v_pk_add_f32 v[2:3], v[20:21], v[14:15]
	v_pk_add_f32 v[4:5], v[20:21], v[14:15] neg_lo:[0,1] neg_hi:[0,1]
	v_pk_fma_f32 v[2:3], v[2:3], 0.5, v[18:19] op_sel_hi:[1,0,1] neg_lo:[1,0,0] neg_hi:[1,0,0]
	v_pk_mul_f32 v[4:5], v[4:5], s[0:1] op_sel_hi:[1,0]
	s_nop 0
	v_pk_add_f32 v[8:9], v[2:3], v[4:5] op_sel:[0,1] op_sel_hi:[1,0] neg_lo:[0,1] neg_hi:[0,1]
	v_pk_add_f32 v[2:3], v[2:3], v[4:5] op_sel:[0,1] op_sel_hi:[1,0]
	v_mov_b32_e32 v4, v8
	v_mov_b32_e32 v5, v3
	ds_write2_b64 v56, v[6:7], v[4:5] offset0:93 offset1:148
	v_pk_add_f32 v[4:5], v[44:45], v[38:39]
	v_mov_b32_e32 v3, v9
	v_pk_fma_f32 v[0:1], v[4:5], 0.5, v[0:1] op_sel_hi:[1,0,1] neg_lo:[1,0,0] neg_hi:[1,0,0]
	v_pk_add_f32 v[4:5], v[44:45], v[38:39] neg_lo:[0,1] neg_hi:[0,1]
	ds_write_b64 v142, v[12:13] offset:2640
	v_pk_mul_f32 v[4:5], v[4:5], s[0:1] op_sel_hi:[1,0]
	v_accvgpr_read_b32 v8, a8
	v_pk_add_f32 v[6:7], v[0:1], v[4:5] op_sel:[0,1] op_sel_hi:[1,0] neg_lo:[0,1] neg_hi:[0,1]
	v_pk_add_f32 v[0:1], v[0:1], v[4:5] op_sel:[0,1] op_sel_hi:[1,0]
	v_mov_b32_e32 v4, v6
	v_mov_b32_e32 v5, v1
	ds_write_b64 v142, v[4:5] offset:5720
	v_mov_b32_e32 v1, v7
	v_add_u32_e32 v4, 0x2000, v142
	ds_write2_b64 v4, v[2:3], v[0:1] offset0:21 offset1:76
	s_waitcnt lgkmcnt(0)
	; wave barrier
	s_waitcnt lgkmcnt(0)
	ds_read2_b64 v[0:3], v142 offset1:105
	v_accvgpr_read_b32 v6, a26
	v_mad_u64_u32 v[4:5], s[0:1], s11, v60, v[26:27]
	v_accvgpr_read_b32 v7, a27
	v_mov_b32_e32 v25, v4
	s_waitcnt lgkmcnt(0)
	v_mul_f32_e32 v4, v7, v1
	v_fmac_f32_e32 v4, v6, v0
	v_mul_f32_e32 v0, v7, v0
	s_mov_b32 s0, 0x33a4aea8
	v_fma_f32 v0, v6, v1, -v0
	v_cvt_f64_f32_e32 v[4:5], v4
	s_mov_b32 s1, 0x3f4c5edd
	v_cvt_f64_f32_e32 v[0:1], v0
	v_mul_f64 v[4:5], v[4:5], s[0:1]
	v_mul_f64 v[0:1], v[0:1], s[0:1]
	v_cvt_f32_f64_e32 v4, v[4:5]
	v_cvt_f32_f64_e32 v5, v[0:1]
	v_mad_u64_u32 v[0:1], s[2:3], s8, v8, 0
	v_mov_b32_e32 v6, v1
	v_mad_u64_u32 v[6:7], s[2:3], s9, v8, v[6:7]
	v_accvgpr_read_b32 v8, a24
	v_mov_b32_e32 v1, v6
	v_lshl_add_u64 v[6:7], v[24:25], 3, v[36:37]
	v_accvgpr_read_b32 v9, a25
	v_lshl_add_u64 v[6:7], v[0:1], 3, v[6:7]
	v_mul_f32_e32 v0, v9, v3
	v_fmac_f32_e32 v0, v8, v2
	v_cvt_f64_f32_e32 v[0:1], v0
	v_mul_f64 v[0:1], v[0:1], s[0:1]
	global_store_dwordx2 v[6:7], v[4:5], off
	v_cvt_f32_f64_e32 v4, v[0:1]
	v_mul_f32_e32 v0, v9, v2
	v_fma_f32 v0, v8, v3, -v0
	v_cvt_f64_f32_e32 v[0:1], v0
	v_mul_f64 v[0:1], v[0:1], s[0:1]
	v_cvt_f32_f64_e32 v5, v[0:1]
	ds_read2_b64 v[0:3], v57 offset0:82 offset1:187
	s_mul_i32 s2, s9, 0x69
	s_mul_hi_u32 s3, s8, 0x69
	s_add_i32 s3, s3, s2
	s_mul_i32 s2, s8, 0x69
	s_lshl_b64 s[2:3], s[2:3], 3
	v_accvgpr_read_b32 v8, a20
	v_lshl_add_u64 v[6:7], v[6:7], 0, s[2:3]
	v_accvgpr_read_b32 v9, a21
	global_store_dwordx2 v[6:7], v[4:5], off
	s_waitcnt lgkmcnt(0)
	v_mul_f32_e32 v4, v9, v1
	v_fmac_f32_e32 v4, v8, v0
	v_mul_f32_e32 v0, v9, v0
	v_fma_f32 v0, v8, v1, -v0
	v_cvt_f64_f32_e32 v[4:5], v4
	v_cvt_f64_f32_e32 v[0:1], v0
	v_mul_f64 v[4:5], v[4:5], s[0:1]
	v_mul_f64 v[0:1], v[0:1], s[0:1]
	v_cvt_f32_f64_e32 v4, v[4:5]
	v_cvt_f32_f64_e32 v5, v[0:1]
	v_lshl_add_u64 v[0:1], v[6:7], 0, s[2:3]
	v_accvgpr_read_b32 v6, a22
	v_accvgpr_read_b32 v7, a23
	global_store_dwordx2 v[0:1], v[4:5], off
	v_mul_f32_e32 v4, v7, v3
	v_fmac_f32_e32 v4, v6, v2
	v_mul_f32_e32 v2, v7, v2
	v_cvt_f64_f32_e32 v[4:5], v4
	v_fma_f32 v2, v6, v3, -v2
	v_mul_f64 v[4:5], v[4:5], s[0:1]
	v_cvt_f64_f32_e32 v[10:11], v2
	v_add_u32_e32 v2, 0xc00, v142
	v_cvt_f32_f64_e32 v8, v[4:5]
	ds_read2_b64 v[4:7], v2 offset0:36 offset1:141
	v_mul_f64 v[10:11], v[10:11], s[0:1]
	v_cvt_f32_f64_e32 v9, v[10:11]
	v_accvgpr_read_b32 v10, a14
	v_accvgpr_read_b32 v11, a15
	s_waitcnt lgkmcnt(0)
	v_mul_f32_e32 v3, v11, v5
	v_lshl_add_u64 v[0:1], v[0:1], 0, s[2:3]
	v_fmac_f32_e32 v3, v10, v4
	global_store_dwordx2 v[0:1], v[8:9], off
	v_cvt_f64_f32_e32 v[8:9], v3
	v_mul_f32_e32 v3, v11, v4
	v_fma_f32 v3, v10, v5, -v3
	v_accvgpr_read_b32 v10, a16
	v_accvgpr_read_b32 v11, a17
	v_cvt_f64_f32_e32 v[4:5], v3
	v_mul_f32_e32 v3, v11, v7
	v_mul_f64 v[8:9], v[8:9], s[0:1]
	v_mul_f64 v[4:5], v[4:5], s[0:1]
	v_fmac_f32_e32 v3, v10, v6
	v_cvt_f32_f64_e32 v8, v[8:9]
	v_cvt_f32_f64_e32 v9, v[4:5]
	v_cvt_f64_f32_e32 v[4:5], v3
	v_lshl_add_u64 v[0:1], v[0:1], 0, s[2:3]
	v_mul_f64 v[4:5], v[4:5], s[0:1]
	v_mul_f32_e32 v3, v11, v6
	global_store_dwordx2 v[0:1], v[8:9], off
	v_cvt_f32_f64_e32 v8, v[4:5]
	v_fma_f32 v3, v10, v7, -v3
	ds_read2_b64 v[4:7], v56 offset0:118 offset1:223
	v_cvt_f64_f32_e32 v[10:11], v3
	v_mul_f64 v[10:11], v[10:11], s[0:1]
	v_cvt_f32_f64_e32 v9, v[10:11]
	v_accvgpr_read_b32 v10, a12
	v_accvgpr_read_b32 v11, a13
	s_waitcnt lgkmcnt(0)
	v_mul_f32_e32 v3, v11, v5
	v_lshl_add_u64 v[0:1], v[0:1], 0, s[2:3]
	v_fmac_f32_e32 v3, v10, v4
	global_store_dwordx2 v[0:1], v[8:9], off
	v_cvt_f64_f32_e32 v[8:9], v3
	v_mul_f32_e32 v3, v11, v4
	v_fma_f32 v3, v10, v5, -v3
	v_accvgpr_read_b32 v10, a10
	v_accvgpr_read_b32 v11, a11
	v_cvt_f64_f32_e32 v[4:5], v3
	v_mul_f32_e32 v3, v11, v7
	v_mul_f64 v[8:9], v[8:9], s[0:1]
	v_mul_f64 v[4:5], v[4:5], s[0:1]
	v_fmac_f32_e32 v3, v10, v6
	v_cvt_f32_f64_e32 v8, v[8:9]
	v_cvt_f32_f64_e32 v9, v[4:5]
	v_cvt_f64_f32_e32 v[4:5], v3
	v_lshl_add_u64 v[0:1], v[0:1], 0, s[2:3]
	v_mul_f64 v[4:5], v[4:5], s[0:1]
	v_mul_f32_e32 v3, v11, v6
	global_store_dwordx2 v[0:1], v[8:9], off
	v_cvt_f32_f64_e32 v8, v[4:5]
	v_fma_f32 v3, v10, v7, -v3
	ds_read2_b64 v[4:7], v54 offset0:72 offset1:177
	v_cvt_f64_f32_e32 v[10:11], v3
	v_mul_f64 v[10:11], v[10:11], s[0:1]
	v_cvt_f32_f64_e32 v9, v[10:11]
	v_accvgpr_read_b32 v11, a7
	v_accvgpr_read_b32 v10, a6
	s_waitcnt lgkmcnt(0)
	v_mul_f32_e32 v3, v11, v5
	v_lshl_add_u64 v[0:1], v[0:1], 0, s[2:3]
	v_fmac_f32_e32 v3, v10, v4
	global_store_dwordx2 v[0:1], v[8:9], off
	v_cvt_f64_f32_e32 v[8:9], v3
	v_mul_f32_e32 v3, v11, v4
	v_fma_f32 v3, v10, v5, -v3
	v_cvt_f64_f32_e32 v[4:5], v3
	v_mul_f64 v[8:9], v[8:9], s[0:1]
	v_mul_f64 v[4:5], v[4:5], s[0:1]
	v_cvt_f32_f64_e32 v8, v[8:9]
	v_cvt_f32_f64_e32 v9, v[4:5]
	v_lshl_add_u64 v[0:1], v[0:1], 0, s[2:3]
	global_store_dwordx2 v[0:1], v[8:9], off
	v_accvgpr_read_b32 v9, a5
	v_accvgpr_read_b32 v8, a4
	v_mul_f32_e32 v3, v9, v7
	v_fmac_f32_e32 v3, v8, v6
	v_cvt_f64_f32_e32 v[4:5], v3
	v_mul_f32_e32 v3, v9, v6
	v_fma_f32 v3, v8, v7, -v3
	ds_read_b64 v[8:9], v142 offset:8400
	v_cvt_f64_f32_e32 v[6:7], v3
	v_mul_f64 v[4:5], v[4:5], s[0:1]
	v_mul_f64 v[6:7], v[6:7], s[0:1]
	v_cvt_f32_f64_e32 v4, v[4:5]
	v_cvt_f32_f64_e32 v5, v[6:7]
	v_accvgpr_read_b32 v7, a3
	v_accvgpr_read_b32 v6, a2
	s_waitcnt lgkmcnt(0)
	v_mul_f32_e32 v3, v7, v9
	v_lshl_add_u64 v[0:1], v[0:1], 0, s[2:3]
	v_fmac_f32_e32 v3, v6, v8
	global_store_dwordx2 v[0:1], v[4:5], off
	v_cvt_f64_f32_e32 v[4:5], v3
	v_mul_f32_e32 v3, v7, v8
	v_fma_f32 v3, v6, v9, -v3
	v_cvt_f64_f32_e32 v[6:7], v3
	v_mul_f64 v[4:5], v[4:5], s[0:1]
	v_mul_f64 v[6:7], v[6:7], s[0:1]
	v_cvt_f32_f64_e32 v4, v[4:5]
	v_cvt_f32_f64_e32 v5, v[6:7]
	v_lshl_add_u64 v[0:1], v[0:1], 0, s[2:3]
	global_store_dwordx2 v[0:1], v[4:5], off
	s_and_b64 exec, exec, s[4:5]
	s_cbranch_execz .LBB0_23
; %bb.22:
	v_accvgpr_read_b32 v13, a1
	v_accvgpr_read_b32 v12, a0
	global_load_dwordx2 v[8:9], v[12:13], off offset:440
	ds_read2_b64 v[4:7], v142 offset0:55 offset1:160
	v_mov_b32_e32 v3, 0xffffe0e8
	v_mad_u64_u32 v[0:1], s[4:5], s8, v3, v[0:1]
	s_mulk_i32 s9, 0xe0e8
	s_sub_i32 s4, s9, s8
	v_add_u32_e32 v1, s4, v1
	s_waitcnt vmcnt(0) lgkmcnt(0)
	v_mul_f32_e32 v3, v5, v9
	v_mul_f32_e32 v9, v4, v9
	v_fmac_f32_e32 v3, v4, v8
	v_fma_f32 v8, v8, v5, -v9
	v_cvt_f64_f32_e32 v[4:5], v3
	v_cvt_f64_f32_e32 v[8:9], v8
	v_mul_f64 v[4:5], v[4:5], s[0:1]
	v_mul_f64 v[8:9], v[8:9], s[0:1]
	v_cvt_f32_f64_e32 v4, v[4:5]
	v_cvt_f32_f64_e32 v5, v[8:9]
	global_store_dwordx2 v[0:1], v[4:5], off
	global_load_dwordx2 v[4:5], v[12:13], off offset:1280
	v_lshl_add_u64 v[0:1], v[0:1], 0, s[2:3]
	s_waitcnt vmcnt(0)
	v_mul_f32_e32 v3, v7, v5
	v_mul_f32_e32 v5, v6, v5
	v_fmac_f32_e32 v3, v6, v4
	v_fma_f32 v6, v4, v7, -v5
	v_cvt_f64_f32_e32 v[4:5], v3
	v_cvt_f64_f32_e32 v[6:7], v6
	v_mul_f64 v[4:5], v[4:5], s[0:1]
	v_mul_f64 v[6:7], v[6:7], s[0:1]
	v_cvt_f32_f64_e32 v4, v[4:5]
	v_cvt_f32_f64_e32 v5, v[6:7]
	global_store_dwordx2 v[0:1], v[4:5], off
	global_load_dwordx2 v[8:9], v[12:13], off offset:2120
	ds_read2_b64 v[4:7], v55 offset0:9 offset1:114
	v_lshl_add_u64 v[0:1], v[0:1], 0, s[2:3]
	s_waitcnt vmcnt(0) lgkmcnt(0)
	v_mul_f32_e32 v3, v5, v9
	v_mul_f32_e32 v9, v4, v9
	v_fmac_f32_e32 v3, v4, v8
	v_fma_f32 v8, v8, v5, -v9
	v_cvt_f64_f32_e32 v[4:5], v3
	v_cvt_f64_f32_e32 v[8:9], v8
	v_mul_f64 v[4:5], v[4:5], s[0:1]
	v_mul_f64 v[8:9], v[8:9], s[0:1]
	v_cvt_f32_f64_e32 v4, v[4:5]
	v_cvt_f32_f64_e32 v5, v[8:9]
	global_store_dwordx2 v[0:1], v[4:5], off
	global_load_dwordx2 v[4:5], v[12:13], off offset:2960
	v_lshl_add_u64 v[8:9], v[0:1], 0, s[2:3]
	s_waitcnt vmcnt(0)
	v_mul_f32_e32 v0, v7, v5
	v_mul_f32_e32 v1, v6, v5
	v_fmac_f32_e32 v0, v6, v4
	v_fma_f32 v3, v4, v7, -v1
	v_cvt_f64_f32_e32 v[0:1], v0
	v_cvt_f64_f32_e32 v[4:5], v3
	v_mul_f64 v[0:1], v[0:1], s[0:1]
	v_mul_f64 v[4:5], v[4:5], s[0:1]
	v_cvt_f32_f64_e32 v0, v[0:1]
	v_cvt_f32_f64_e32 v1, v[4:5]
	global_store_dwordx2 v[8:9], v[0:1], off
	global_load_dwordx2 v[4:5], v[12:13], off offset:3800
	ds_read2_b64 v[0:3], v2 offset0:91 offset1:196
	v_add_co_u32_e32 v6, vcc, s7, v12
	v_lshl_add_u64 v[8:9], v[8:9], 0, s[2:3]
	s_nop 0
	v_addc_co_u32_e32 v7, vcc, 0, v13, vcc
	s_waitcnt vmcnt(0) lgkmcnt(0)
	v_mul_f32_e32 v10, v1, v5
	v_mul_f32_e32 v5, v0, v5
	v_fmac_f32_e32 v10, v0, v4
	v_fma_f32 v4, v4, v1, -v5
	v_cvt_f64_f32_e32 v[0:1], v10
	v_cvt_f64_f32_e32 v[4:5], v4
	v_mul_f64 v[0:1], v[0:1], s[0:1]
	v_mul_f64 v[4:5], v[4:5], s[0:1]
	v_cvt_f32_f64_e32 v0, v[0:1]
	v_cvt_f32_f64_e32 v1, v[4:5]
	global_store_dwordx2 v[8:9], v[0:1], off
	global_load_dwordx2 v[0:1], v[6:7], off offset:544
	v_lshl_add_u64 v[4:5], v[8:9], 0, s[2:3]
	s_waitcnt vmcnt(0)
	v_mul_f32_e32 v8, v3, v1
	v_mul_f32_e32 v1, v2, v1
	v_fmac_f32_e32 v8, v2, v0
	v_fma_f32 v2, v0, v3, -v1
	v_cvt_f64_f32_e32 v[0:1], v8
	v_cvt_f64_f32_e32 v[2:3], v2
	v_mul_f64 v[0:1], v[0:1], s[0:1]
	v_mul_f64 v[2:3], v[2:3], s[0:1]
	v_cvt_f32_f64_e32 v0, v[0:1]
	v_cvt_f32_f64_e32 v1, v[2:3]
	global_store_dwordx2 v[4:5], v[0:1], off
	global_load_dwordx2 v[8:9], v[6:7], off offset:1384
	v_add_u32_e32 v0, 0x1400, v142
	ds_read2_b64 v[0:3], v0 offset0:45 offset1:150
	v_lshl_add_u64 v[4:5], v[4:5], 0, s[2:3]
	s_waitcnt vmcnt(0) lgkmcnt(0)
	v_mul_f32_e32 v10, v1, v9
	v_mul_f32_e32 v9, v0, v9
	v_fmac_f32_e32 v10, v0, v8
	v_fma_f32 v8, v8, v1, -v9
	v_cvt_f64_f32_e32 v[0:1], v10
	v_cvt_f64_f32_e32 v[8:9], v8
	v_mul_f64 v[0:1], v[0:1], s[0:1]
	v_mul_f64 v[8:9], v[8:9], s[0:1]
	v_cvt_f32_f64_e32 v0, v[0:1]
	v_cvt_f32_f64_e32 v1, v[8:9]
	global_store_dwordx2 v[4:5], v[0:1], off
	global_load_dwordx2 v[0:1], v[6:7], off offset:2224
	v_lshl_add_u64 v[4:5], v[4:5], 0, s[2:3]
	s_waitcnt vmcnt(0)
	v_mul_f32_e32 v8, v3, v1
	v_mul_f32_e32 v1, v2, v1
	v_fmac_f32_e32 v8, v2, v0
	v_fma_f32 v2, v0, v3, -v1
	v_cvt_f64_f32_e32 v[0:1], v8
	v_cvt_f64_f32_e32 v[2:3], v2
	v_mul_f64 v[0:1], v[0:1], s[0:1]
	v_mul_f64 v[2:3], v[2:3], s[0:1]
	v_cvt_f32_f64_e32 v0, v[0:1]
	v_cvt_f32_f64_e32 v1, v[2:3]
	global_store_dwordx2 v[4:5], v[0:1], off
	global_load_dwordx2 v[8:9], v[6:7], off offset:3064
	ds_read2_b64 v[0:3], v54 offset0:127 offset1:232
	v_lshl_add_u64 v[4:5], v[4:5], 0, s[2:3]
	s_waitcnt vmcnt(0) lgkmcnt(0)
	v_mul_f32_e32 v10, v1, v9
	v_mul_f32_e32 v9, v0, v9
	v_fmac_f32_e32 v10, v0, v8
	v_fma_f32 v8, v8, v1, -v9
	v_cvt_f64_f32_e32 v[0:1], v10
	v_cvt_f64_f32_e32 v[8:9], v8
	v_mul_f64 v[0:1], v[0:1], s[0:1]
	v_mul_f64 v[8:9], v[8:9], s[0:1]
	v_cvt_f32_f64_e32 v0, v[0:1]
	v_cvt_f32_f64_e32 v1, v[8:9]
	global_store_dwordx2 v[4:5], v[0:1], off
	global_load_dwordx2 v[0:1], v[6:7], off offset:3904
	v_add_co_u32_e32 v6, vcc, s6, v12
	v_lshl_add_u64 v[4:5], v[4:5], 0, s[2:3]
	s_nop 0
	v_addc_co_u32_e32 v7, vcc, 0, v13, vcc
	s_waitcnt vmcnt(0)
	v_mul_f32_e32 v8, v3, v1
	v_mul_f32_e32 v1, v2, v1
	v_fmac_f32_e32 v8, v2, v0
	v_fma_f32 v2, v0, v3, -v1
	v_cvt_f64_f32_e32 v[0:1], v8
	v_cvt_f64_f32_e32 v[2:3], v2
	v_mul_f64 v[0:1], v[0:1], s[0:1]
	v_mul_f64 v[2:3], v[2:3], s[0:1]
	v_cvt_f32_f64_e32 v0, v[0:1]
	v_cvt_f32_f64_e32 v1, v[2:3]
	global_store_dwordx2 v[4:5], v[0:1], off
	global_load_dwordx2 v[0:1], v[6:7], off offset:648
	ds_read_b64 v[2:3], v142 offset:8840
	s_waitcnt vmcnt(0) lgkmcnt(0)
	v_mul_f32_e32 v6, v3, v1
	v_mul_f32_e32 v1, v2, v1
	v_fmac_f32_e32 v6, v2, v0
	v_fma_f32 v2, v0, v3, -v1
	v_cvt_f64_f32_e32 v[0:1], v6
	v_cvt_f64_f32_e32 v[2:3], v2
	v_mul_f64 v[0:1], v[0:1], s[0:1]
	v_mul_f64 v[2:3], v[2:3], s[0:1]
	v_cvt_f32_f64_e32 v0, v[0:1]
	v_cvt_f32_f64_e32 v1, v[2:3]
	v_lshl_add_u64 v[2:3], v[4:5], 0, s[2:3]
	global_store_dwordx2 v[2:3], v[0:1], off
.LBB0_23:
	s_endpgm
	.section	.rodata,"a",@progbits
	.p2align	6, 0x0
	.amdhsa_kernel bluestein_single_back_len1155_dim1_sp_op_CI_CI
		.amdhsa_group_segment_fixed_size 9240
		.amdhsa_private_segment_fixed_size 0
		.amdhsa_kernarg_size 104
		.amdhsa_user_sgpr_count 2
		.amdhsa_user_sgpr_dispatch_ptr 0
		.amdhsa_user_sgpr_queue_ptr 0
		.amdhsa_user_sgpr_kernarg_segment_ptr 1
		.amdhsa_user_sgpr_dispatch_id 0
		.amdhsa_user_sgpr_kernarg_preload_length 0
		.amdhsa_user_sgpr_kernarg_preload_offset 0
		.amdhsa_user_sgpr_private_segment_size 0
		.amdhsa_uses_dynamic_stack 0
		.amdhsa_enable_private_segment 0
		.amdhsa_system_sgpr_workgroup_id_x 1
		.amdhsa_system_sgpr_workgroup_id_y 0
		.amdhsa_system_sgpr_workgroup_id_z 0
		.amdhsa_system_sgpr_workgroup_info 0
		.amdhsa_system_vgpr_workitem_id 0
		.amdhsa_next_free_vgpr 332
		.amdhsa_next_free_sgpr 52
		.amdhsa_accum_offset 256
		.amdhsa_reserve_vcc 1
		.amdhsa_float_round_mode_32 0
		.amdhsa_float_round_mode_16_64 0
		.amdhsa_float_denorm_mode_32 3
		.amdhsa_float_denorm_mode_16_64 3
		.amdhsa_dx10_clamp 1
		.amdhsa_ieee_mode 1
		.amdhsa_fp16_overflow 0
		.amdhsa_tg_split 0
		.amdhsa_exception_fp_ieee_invalid_op 0
		.amdhsa_exception_fp_denorm_src 0
		.amdhsa_exception_fp_ieee_div_zero 0
		.amdhsa_exception_fp_ieee_overflow 0
		.amdhsa_exception_fp_ieee_underflow 0
		.amdhsa_exception_fp_ieee_inexact 0
		.amdhsa_exception_int_div_zero 0
	.end_amdhsa_kernel
	.text
.Lfunc_end0:
	.size	bluestein_single_back_len1155_dim1_sp_op_CI_CI, .Lfunc_end0-bluestein_single_back_len1155_dim1_sp_op_CI_CI
                                        ; -- End function
	.section	.AMDGPU.csdata,"",@progbits
; Kernel info:
; codeLenInByte = 26136
; NumSgprs: 58
; NumVgprs: 256
; NumAgprs: 76
; TotalNumVgprs: 332
; ScratchSize: 0
; MemoryBound: 0
; FloatMode: 240
; IeeeMode: 1
; LDSByteSize: 9240 bytes/workgroup (compile time only)
; SGPRBlocks: 7
; VGPRBlocks: 41
; NumSGPRsForWavesPerEU: 58
; NumVGPRsForWavesPerEU: 332
; AccumOffset: 256
; Occupancy: 1
; WaveLimiterHint : 1
; COMPUTE_PGM_RSRC2:SCRATCH_EN: 0
; COMPUTE_PGM_RSRC2:USER_SGPR: 2
; COMPUTE_PGM_RSRC2:TRAP_HANDLER: 0
; COMPUTE_PGM_RSRC2:TGID_X_EN: 1
; COMPUTE_PGM_RSRC2:TGID_Y_EN: 0
; COMPUTE_PGM_RSRC2:TGID_Z_EN: 0
; COMPUTE_PGM_RSRC2:TIDIG_COMP_CNT: 0
; COMPUTE_PGM_RSRC3_GFX90A:ACCUM_OFFSET: 63
; COMPUTE_PGM_RSRC3_GFX90A:TG_SPLIT: 0
	.text
	.p2alignl 6, 3212836864
	.fill 256, 4, 3212836864
	.type	__hip_cuid_4ee3e49a5760eebe,@object ; @__hip_cuid_4ee3e49a5760eebe
	.section	.bss,"aw",@nobits
	.globl	__hip_cuid_4ee3e49a5760eebe
__hip_cuid_4ee3e49a5760eebe:
	.byte	0                               ; 0x0
	.size	__hip_cuid_4ee3e49a5760eebe, 1

	.ident	"AMD clang version 19.0.0git (https://github.com/RadeonOpenCompute/llvm-project roc-6.4.0 25133 c7fe45cf4b819c5991fe208aaa96edf142730f1d)"
	.section	".note.GNU-stack","",@progbits
	.addrsig
	.addrsig_sym __hip_cuid_4ee3e49a5760eebe
	.amdgpu_metadata
---
amdhsa.kernels:
  - .agpr_count:     76
    .args:
      - .actual_access:  read_only
        .address_space:  global
        .offset:         0
        .size:           8
        .value_kind:     global_buffer
      - .actual_access:  read_only
        .address_space:  global
        .offset:         8
        .size:           8
        .value_kind:     global_buffer
      - .actual_access:  read_only
        .address_space:  global
        .offset:         16
        .size:           8
        .value_kind:     global_buffer
      - .actual_access:  read_only
        .address_space:  global
        .offset:         24
        .size:           8
        .value_kind:     global_buffer
      - .actual_access:  read_only
        .address_space:  global
        .offset:         32
        .size:           8
        .value_kind:     global_buffer
      - .offset:         40
        .size:           8
        .value_kind:     by_value
      - .address_space:  global
        .offset:         48
        .size:           8
        .value_kind:     global_buffer
      - .address_space:  global
        .offset:         56
        .size:           8
        .value_kind:     global_buffer
      - .address_space:  global
        .offset:         64
        .size:           8
        .value_kind:     global_buffer
      - .address_space:  global
        .offset:         72
        .size:           8
        .value_kind:     global_buffer
      - .offset:         80
        .size:           4
        .value_kind:     by_value
      - .address_space:  global
        .offset:         88
        .size:           8
        .value_kind:     global_buffer
      - .address_space:  global
        .offset:         96
        .size:           8
        .value_kind:     global_buffer
    .group_segment_fixed_size: 9240
    .kernarg_segment_align: 8
    .kernarg_segment_size: 104
    .language:       OpenCL C
    .language_version:
      - 2
      - 0
    .max_flat_workgroup_size: 55
    .name:           bluestein_single_back_len1155_dim1_sp_op_CI_CI
    .private_segment_fixed_size: 0
    .sgpr_count:     58
    .sgpr_spill_count: 0
    .symbol:         bluestein_single_back_len1155_dim1_sp_op_CI_CI.kd
    .uniform_work_group_size: 1
    .uses_dynamic_stack: false
    .vgpr_count:     332
    .vgpr_spill_count: 0
    .wavefront_size: 64
amdhsa.target:   amdgcn-amd-amdhsa--gfx950
amdhsa.version:
  - 1
  - 2
...

	.end_amdgpu_metadata
